;; amdgpu-corpus repo=ROCm/rocFFT kind=compiled arch=gfx1030 opt=O3
	.text
	.amdgcn_target "amdgcn-amd-amdhsa--gfx1030"
	.amdhsa_code_object_version 6
	.protected	bluestein_single_back_len306_dim1_sp_op_CI_CI ; -- Begin function bluestein_single_back_len306_dim1_sp_op_CI_CI
	.globl	bluestein_single_back_len306_dim1_sp_op_CI_CI
	.p2align	8
	.type	bluestein_single_back_len306_dim1_sp_op_CI_CI,@function
bluestein_single_back_len306_dim1_sp_op_CI_CI: ; @bluestein_single_back_len306_dim1_sp_op_CI_CI
; %bb.0:
	s_load_dwordx4 s[0:3], s[4:5], 0x28
	v_mul_u32_u24_e32 v1, 0x788, v0
	v_lshrrev_b32_e32 v1, 16, v1
	v_mad_u64_u32 v[40:41], null, s6, 7, v[1:2]
	v_mov_b32_e32 v41, 0
                                        ; kill: def $vgpr2 killed $sgpr0 killed $exec
	s_waitcnt lgkmcnt(0)
	v_cmp_gt_u64_e32 vcc_lo, s[0:1], v[40:41]
	s_and_saveexec_b32 s0, vcc_lo
	s_cbranch_execz .LBB0_23
; %bb.1:
	v_mul_hi_u32 v2, 0x24924925, v40
	v_mul_lo_u16 v1, v1, 34
	s_clause 0x1
	s_load_dwordx2 s[12:13], s[4:5], 0x0
	s_load_dwordx2 s[14:15], s[4:5], 0x38
	v_sub_nc_u16 v0, v0, v1
	v_sub_nc_u32_e32 v3, v40, v2
	v_and_b32_e32 v79, 0xffff, v0
	v_cmp_gt_u16_e32 vcc_lo, 18, v0
	v_lshrrev_b32_e32 v3, 1, v3
	v_lshlrev_b32_e32 v78, 3, v79
	v_or_b32_e32 v77, 0x120, v79
	v_add_nc_u32_e32 v2, v3, v2
	v_lshrrev_b32_e32 v2, 2, v2
	v_mul_lo_u32 v2, v2, 7
	v_sub_nc_u32_e32 v1, v40, v2
	v_mul_u32_u24_e32 v61, 0x132, v1
	v_lshlrev_b32_e32 v80, 3, v61
	s_and_saveexec_b32 s1, vcc_lo
	s_cbranch_execz .LBB0_3
; %bb.2:
	s_load_dwordx2 s[6:7], s[4:5], 0x18
	s_waitcnt lgkmcnt(0)
	global_load_dwordx2 v[0:1], v78, s[12:13] offset:288
	v_lshlrev_b32_e32 v32, 3, v77
	v_add_co_u32 v39, s0, s12, v78
	v_add_co_ci_u32_e64 v41, null, s13, 0, s0
	v_lshl_add_u32 v72, v79, 3, v80
	v_add_nc_u32_e32 v73, v80, v78
	s_load_dwordx4 s[8:11], s[6:7], 0x0
	s_clause 0xd
	global_load_dwordx2 v[2:3], v78, s[12:13] offset:432
	global_load_dwordx2 v[4:5], v78, s[12:13] offset:576
	;; [unrolled: 1-line block ×12, first 2 shown]
	global_load_dwordx2 v[30:31], v78, s[12:13]
	global_load_dwordx2 v[32:33], v32, s[12:13]
	s_waitcnt lgkmcnt(0)
	v_mad_u64_u32 v[10:11], null, s10, v40, 0
	v_mad_u64_u32 v[20:21], null, s8, v79, 0
	s_mul_hi_u32 s6, s8, 0x90
	s_mul_i32 s7, s8, 0x90
	s_waitcnt vmcnt(5)
	v_mad_u64_u32 v[37:38], null, s9, v79, v[21:22]
	v_mad_u64_u32 v[34:35], null, s11, v40, v[11:12]
	;; [unrolled: 1-line block ×3, first 2 shown]
	v_add_co_u32 v38, s0, 0x800, v39
	v_mov_b32_e32 v21, v37
	v_add_co_ci_u32_e64 v39, s0, 0, v41, s0
	v_mov_b32_e32 v11, v34
	v_mov_b32_e32 v34, v36
	s_mul_i32 s0, s9, 0x90
	v_lshlrev_b64 v[20:21], 3, v[20:21]
	s_add_i32 s6, s6, s0
	v_lshlrev_b64 v[10:11], 3, v[10:11]
	v_mad_u64_u32 v[36:37], null, s9, v77, v[34:35]
	v_add_co_u32 v37, s0, s2, v10
	v_add_co_ci_u32_e64 v41, s0, s3, v11, s0
	v_add_co_u32 v10, s0, v37, v20
	v_add_co_ci_u32_e64 v11, s0, v41, v21, s0
	v_lshlrev_b64 v[20:21], 3, v[35:36]
	v_add_co_u32 v34, s0, v10, s7
	v_add_co_ci_u32_e64 v35, s0, s6, v11, s0
	global_load_dwordx2 v[10:11], v[10:11], off
	v_add_co_u32 v20, s0, v37, v20
	v_add_co_ci_u32_e64 v21, s0, v41, v21, s0
	v_add_co_u32 v36, s0, v34, s7
	v_add_co_ci_u32_e64 v37, s0, s6, v35, s0
	global_load_dwordx2 v[20:21], v[20:21], off
	v_add_co_u32 v41, s0, v36, s7
	v_add_co_ci_u32_e64 v42, s0, s6, v37, s0
	v_add_co_u32 v43, s0, v41, s7
	v_add_co_ci_u32_e64 v44, s0, s6, v42, s0
	s_clause 0x2
	global_load_dwordx2 v[34:35], v[34:35], off
	global_load_dwordx2 v[36:37], v[36:37], off
	;; [unrolled: 1-line block ×3, first 2 shown]
	v_add_co_u32 v45, s0, v43, s7
	v_add_co_ci_u32_e64 v46, s0, s6, v44, s0
	global_load_dwordx2 v[43:44], v[43:44], off
	v_add_co_u32 v47, s0, v45, s7
	v_add_co_ci_u32_e64 v48, s0, s6, v46, s0
	global_load_dwordx2 v[45:46], v[45:46], off
	v_add_co_u32 v49, s0, v47, s7
	v_add_co_ci_u32_e64 v50, s0, s6, v48, s0
	global_load_dwordx2 v[47:48], v[47:48], off
	v_add_co_u32 v51, s0, v49, s7
	v_add_co_ci_u32_e64 v52, s0, s6, v50, s0
	global_load_dwordx2 v[49:50], v[49:50], off
	v_add_co_u32 v53, s0, v51, s7
	v_add_co_ci_u32_e64 v54, s0, s6, v52, s0
	global_load_dwordx2 v[51:52], v[51:52], off
	v_add_co_u32 v55, s0, v53, s7
	v_add_co_ci_u32_e64 v56, s0, s6, v54, s0
	global_load_dwordx2 v[53:54], v[53:54], off
	v_add_co_u32 v57, s0, v55, s7
	v_add_co_ci_u32_e64 v58, s0, s6, v56, s0
	global_load_dwordx2 v[55:56], v[55:56], off
	v_add_co_u32 v59, s0, v57, s7
	v_add_co_ci_u32_e64 v60, s0, s6, v58, s0
	global_load_dwordx2 v[57:58], v[57:58], off
	v_add_co_u32 v62, s0, v59, s7
	v_add_co_ci_u32_e64 v63, s0, s6, v60, s0
	global_load_dwordx2 v[59:60], v[59:60], off
	v_add_co_u32 v64, s0, v62, s7
	v_add_co_ci_u32_e64 v65, s0, s6, v63, s0
	global_load_dwordx2 v[62:63], v[62:63], off
	v_add_co_u32 v66, s0, v64, s7
	v_add_co_ci_u32_e64 v67, s0, s6, v65, s0
	global_load_dwordx2 v[68:69], v78, s[12:13] offset:2016
	global_load_dwordx2 v[64:65], v[64:65], off
	global_load_dwordx2 v[38:39], v[38:39], off offset:112
	global_load_dwordx2 v[66:67], v[66:67], off
	s_waitcnt vmcnt(18)
	v_mul_f32_e32 v71, v10, v31
	v_mul_f32_e32 v70, v11, v31
	v_fma_f32 v71, v11, v30, -v71
	v_fmac_f32_e32 v70, v10, v30
	s_waitcnt vmcnt(17)
	v_mul_f32_e32 v31, v21, v33
	v_mul_f32_e32 v33, v20, v33
	ds_write_b64 v72, v[70:71]
	v_fmac_f32_e32 v31, v20, v32
	v_fma_f32 v32, v21, v32, -v33
	s_waitcnt vmcnt(16)
	v_mul_f32_e32 v11, v34, v29
	v_mul_f32_e32 v10, v35, v29
	s_waitcnt vmcnt(15)
	v_mul_f32_e32 v21, v36, v1
	v_mul_f32_e32 v20, v37, v1
	s_waitcnt vmcnt(14)
	v_mul_f32_e32 v1, v42, v3
	v_fma_f32 v11, v35, v28, -v11
	v_fmac_f32_e32 v10, v34, v28
	v_mul_f32_e32 v28, v41, v3
	s_waitcnt vmcnt(13)
	v_mul_f32_e32 v3, v44, v5
	v_mul_f32_e32 v5, v43, v5
	v_fma_f32 v21, v37, v0, -v21
	v_fmac_f32_e32 v20, v36, v0
	v_fmac_f32_e32 v1, v41, v2
	v_fma_f32 v2, v42, v2, -v28
	v_fmac_f32_e32 v3, v43, v4
	v_fma_f32 v4, v44, v4, -v5
	s_waitcnt vmcnt(12)
	v_mul_f32_e32 v0, v46, v7
	v_mul_f32_e32 v7, v45, v7
	s_waitcnt vmcnt(11)
	v_mul_f32_e32 v5, v48, v9
	ds_write2_b64 v73, v[10:11], v[20:21] offset0:18 offset1:36
	ds_write2_b64 v73, v[1:2], v[3:4] offset0:54 offset1:72
	v_mul_f32_e32 v3, v47, v9
	v_fma_f32 v1, v46, v6, -v7
	s_waitcnt vmcnt(10)
	v_mul_f32_e32 v2, v50, v13
	v_mul_f32_e32 v4, v49, v13
	v_fmac_f32_e32 v0, v45, v6
	v_fmac_f32_e32 v5, v47, v8
	s_waitcnt vmcnt(9)
	v_mul_f32_e32 v7, v52, v15
	v_mul_f32_e32 v9, v51, v15
	v_fma_f32 v6, v48, v8, -v3
	v_fmac_f32_e32 v2, v49, v12
	v_fma_f32 v3, v50, v12, -v4
	v_fmac_f32_e32 v7, v51, v14
	v_fma_f32 v8, v52, v14, -v9
	ds_write2_b64 v73, v[0:1], v[5:6] offset0:90 offset1:108
	s_waitcnt vmcnt(8)
	v_mul_f32_e32 v0, v54, v17
	v_mul_f32_e32 v1, v53, v17
	s_waitcnt vmcnt(7)
	v_mul_f32_e32 v4, v56, v19
	ds_write2_b64 v73, v[2:3], v[7:8] offset0:126 offset1:144
	v_mul_f32_e32 v3, v55, v19
	v_fmac_f32_e32 v0, v53, v16
	v_fma_f32 v1, v54, v16, -v1
	s_waitcnt vmcnt(6)
	v_mul_f32_e32 v2, v58, v23
	v_fmac_f32_e32 v4, v55, v18
	v_fma_f32 v5, v56, v18, -v3
	v_mul_f32_e32 v3, v57, v23
	v_add_nc_u32_e32 v14, 0x800, v73
	s_waitcnt vmcnt(5)
	v_mul_f32_e32 v6, v60, v25
	v_mul_f32_e32 v7, v59, v25
	v_fmac_f32_e32 v2, v57, v22
	v_fma_f32 v3, v58, v22, -v3
	s_waitcnt vmcnt(4)
	v_mul_f32_e32 v8, v63, v27
	v_mul_f32_e32 v9, v62, v27
	v_fmac_f32_e32 v6, v59, v24
	s_waitcnt vmcnt(2)
	v_mul_f32_e32 v10, v65, v69
	v_mul_f32_e32 v11, v64, v69
	s_waitcnt vmcnt(0)
	v_mul_f32_e32 v12, v67, v39
	v_mul_f32_e32 v13, v66, v39
	v_fma_f32 v7, v60, v24, -v7
	v_fmac_f32_e32 v8, v62, v26
	v_fma_f32 v9, v63, v26, -v9
	v_fmac_f32_e32 v10, v64, v68
	v_fma_f32 v11, v65, v68, -v11
	v_fmac_f32_e32 v12, v66, v38
	v_fma_f32 v13, v67, v38, -v13
	ds_write2_b64 v73, v[0:1], v[4:5] offset0:162 offset1:180
	ds_write2_b64 v73, v[2:3], v[6:7] offset0:198 offset1:216
	;; [unrolled: 1-line block ×4, first 2 shown]
.LBB0_3:
	s_or_b32 exec_lo, exec_lo, s1
	v_mov_b32_e32 v4, 0
	v_mov_b32_e32 v5, 0
	s_waitcnt lgkmcnt(0)
	s_barrier
	buffer_gl0_inv
                                        ; implicit-def: $vgpr22
                                        ; implicit-def: $vgpr16
                                        ; implicit-def: $vgpr12
                                        ; implicit-def: $vgpr8
                                        ; implicit-def: $vgpr51
                                        ; implicit-def: $vgpr34
                                        ; implicit-def: $vgpr26
                                        ; implicit-def: $vgpr30
	s_and_saveexec_b32 s0, vcc_lo
	s_cbranch_execz .LBB0_5
; %bb.4:
	v_lshl_add_u32 v0, v61, 3, v78
	ds_read2_b64 v[4:7], v0 offset1:18
	ds_read2_b64 v[28:31], v0 offset0:36 offset1:54
	ds_read2_b64 v[24:27], v0 offset0:72 offset1:90
	v_add_nc_u32_e32 v1, 0x400, v0
	ds_read2_b64 v[32:35], v0 offset0:108 offset1:126
	ds_read2_b64 v[20:23], v0 offset0:144 offset1:162
	;; [unrolled: 1-line block ×5, first 2 shown]
	ds_read_b64 v[51:52], v0 offset:2304
.LBB0_5:
	s_or_b32 exec_lo, exec_lo, s0
	s_waitcnt lgkmcnt(0)
	v_sub_f32_e32 v37, v7, v52
	v_add_f32_e32 v70, v51, v6
	v_sub_f32_e32 v36, v6, v51
	v_sub_f32_e32 v39, v29, v11
	v_add_f32_e32 v71, v52, v7
	v_mul_f32_e32 v54, 0xbeb8f4ab, v37
	v_add_f32_e32 v75, v10, v28
	v_sub_f32_e32 v38, v28, v10
	v_mul_f32_e32 v56, 0xbeb8f4ab, v36
	v_mul_f32_e32 v53, 0xbf2c7751, v39
	v_fmamk_f32 v0, v70, 0x3f6eb680, v54
	v_sub_f32_e32 v50, v31, v9
	v_add_f32_e32 v82, v11, v29
	v_mul_f32_e32 v55, 0xbf2c7751, v38
	v_fma_f32 v1, 0x3f6eb680, v71, -v56
	v_fmamk_f32 v2, v75, 0x3f3d2fb0, v53
	v_add_f32_e32 v0, v0, v4
	v_sub_f32_e32 v49, v30, v8
	v_add_f32_e32 v95, v8, v30
	v_mul_f32_e32 v57, 0xbf65296c, v50
	v_sub_f32_e32 v81, v25, v15
	v_fma_f32 v3, 0x3f3d2fb0, v82, -v55
	v_add_f32_e32 v1, v1, v5
	v_add_f32_e32 v0, v2, v0
	;; [unrolled: 1-line block ×3, first 2 shown]
	v_mul_f32_e32 v59, 0xbf65296c, v49
	v_fmamk_f32 v2, v95, 0x3ee437d1, v57
	v_add_f32_e32 v97, v14, v24
	v_mul_f32_e32 v58, 0xbf7ee86f, v81
	v_sub_f32_e32 v130, v24, v14
	v_sub_f32_e32 v139, v27, v13
	v_add_f32_e32 v1, v3, v1
	v_fma_f32 v3, 0x3ee437d1, v96, -v59
	v_add_f32_e32 v0, v2, v0
	v_fmamk_f32 v2, v97, 0x3dbcf732, v58
	v_add_f32_e32 v107, v15, v25
	v_mul_f32_e32 v62, 0xbf7ee86f, v130
	v_add_f32_e32 v105, v12, v26
	v_mul_f32_e32 v60, 0xbf763a35, v139
	v_sub_f32_e32 v141, v26, v12
	v_add_f32_e32 v1, v3, v1
	v_fma_f32 v3, 0x3dbcf732, v107, -v62
	v_add_f32_e32 v0, v2, v0
	v_fmamk_f32 v2, v105, 0xbe8c1d8e, v60
	v_add_f32_e32 v106, v13, v27
	v_mul_f32_e32 v63, 0xbf763a35, v141
	v_sub_f32_e32 v142, v33, v19
	v_sub_f32_e32 v143, v32, v18
	v_add_f32_e32 v1, v3, v1
	v_add_f32_e32 v0, v2, v0
	v_fma_f32 v2, 0xbe8c1d8e, v106, -v63
	v_add_f32_e32 v108, v18, v32
	v_mul_f32_e32 v64, 0xbf4c4adb, v142
	v_add_f32_e32 v109, v19, v33
	v_mul_f32_e32 v65, 0xbf4c4adb, v143
	v_sub_f32_e32 v146, v35, v17
	v_sub_f32_e32 v149, v34, v16
	v_add_f32_e32 v1, v2, v1
	v_fmamk_f32 v2, v108, 0xbf1a4643, v64
	v_fma_f32 v3, 0xbf1a4643, v109, -v65
	v_add_f32_e32 v118, v16, v34
	v_mul_f32_e32 v66, 0xbf06c442, v146
	v_add_f32_e32 v119, v17, v35
	v_mul_f32_e32 v67, 0xbf06c442, v149
	v_add_f32_e32 v0, v2, v0
	v_add_f32_e32 v1, v3, v1
	v_fmamk_f32 v2, v118, 0xbf59a7d5, v66
	v_mul_f32_e32 v83, 0xbf2c7751, v37
	v_fma_f32 v3, 0xbf59a7d5, v119, -v67
	v_mul_f32_e32 v91, 0xbf2c7751, v36
	v_mul_f32_e32 v84, 0xbf7ee86f, v39
	v_add_f32_e32 v0, v2, v0
	v_fmamk_f32 v2, v70, 0x3f3d2fb0, v83
	v_add_f32_e32 v1, v3, v1
	v_fma_f32 v3, 0x3f3d2fb0, v71, -v91
	v_mul_f32_e32 v93, 0xbf7ee86f, v38
	v_fmamk_f32 v41, v75, 0x3dbcf732, v84
	v_add_f32_e32 v2, v2, v4
	v_mul_f32_e32 v85, 0xbf4c4adb, v50
	v_add_f32_e32 v3, v3, v5
	v_fma_f32 v42, 0x3dbcf732, v82, -v93
	v_mul_f32_e32 v88, 0xbf4c4adb, v49
	v_add_f32_e32 v2, v41, v2
	v_fmamk_f32 v41, v95, 0xbf1a4643, v85
	v_mul_f32_e32 v86, 0xbe3c28d5, v81
	v_add_f32_e32 v3, v42, v3
	v_fma_f32 v42, 0xbf1a4643, v96, -v88
	v_mul_f32_e32 v89, 0xbe3c28d5, v130
	v_sub_f32_e32 v161, v21, v23
	v_add_f32_e32 v2, v41, v2
	v_fmamk_f32 v41, v97, 0xbf7ba420, v86
	v_add_f32_e32 v3, v42, v3
	v_fma_f32 v42, 0xbf7ba420, v107, -v89
	v_mul_f32_e32 v87, 0x3f06c442, v139
	v_mul_f32_e32 v92, 0x3f06c442, v141
	v_sub_f32_e32 v162, v20, v22
	v_add_f32_e32 v121, v22, v20
	v_mul_f32_e32 v68, 0xbe3c28d5, v161
	v_add_f32_e32 v2, v41, v2
	v_add_f32_e32 v3, v42, v3
	v_fmamk_f32 v41, v105, 0xbf59a7d5, v87
	v_fma_f32 v42, 0xbf59a7d5, v106, -v92
	v_mul_f32_e32 v72, 0x3f763a35, v142
	v_mul_f32_e32 v94, 0x3f763a35, v143
	v_add_f32_e32 v122, v23, v21
	v_mul_f32_e32 v69, 0xbe3c28d5, v162
	v_fmamk_f32 v43, v121, 0xbf7ba420, v68
	v_add_f32_e32 v41, v41, v2
	v_add_f32_e32 v3, v42, v3
	v_fmamk_f32 v42, v108, 0xbe8c1d8e, v72
	v_mul_f32_e32 v73, 0x3f65296c, v146
	v_fma_f32 v45, 0xbe8c1d8e, v109, -v94
	v_mul_f32_e32 v74, 0x3f65296c, v149
	v_fma_f32 v44, 0xbf7ba420, v122, -v69
	v_add_f32_e32 v2, v43, v0
	v_add_f32_e32 v0, v42, v41
	v_fmamk_f32 v41, v118, 0x3ee437d1, v73
	v_add_f32_e32 v42, v45, v3
	v_fma_f32 v43, 0x3ee437d1, v119, -v74
	v_mul_f32_e32 v100, 0xbf65296c, v37
	v_mul_f32_e32 v111, 0xbf65296c, v36
	v_add_f32_e32 v3, v44, v1
	v_add_f32_e32 v0, v41, v0
	;; [unrolled: 1-line block ×3, first 2 shown]
	v_mul_f32_e32 v76, 0x3eb8f4ab, v161
	v_fmamk_f32 v41, v70, 0x3ee437d1, v100
	v_mul_f32_e32 v103, 0xbf4c4adb, v39
	v_fma_f32 v42, 0x3ee437d1, v71, -v111
	v_mul_f32_e32 v112, 0xbf4c4adb, v38
	v_fmamk_f32 v43, v121, 0x3f6eb680, v76
	v_add_f32_e32 v41, v41, v4
	v_fmamk_f32 v44, v75, 0xbf1a4643, v103
	v_add_f32_e32 v42, v42, v5
	v_fma_f32 v45, 0xbf1a4643, v82, -v112
	v_mul_f32_e32 v104, 0x3e3c28d5, v50
	v_mul_f32_e32 v113, 0x3e3c28d5, v49
	v_add_f32_e32 v0, v43, v0
	v_add_f32_e32 v41, v44, v41
	;; [unrolled: 1-line block ×3, first 2 shown]
	v_fmamk_f32 v43, v95, 0xbf7ba420, v104
	v_fma_f32 v44, 0xbf7ba420, v96, -v113
	v_mul_f32_e32 v102, 0x3f763a35, v81
	v_mul_f32_e32 v114, 0x3f763a35, v130
	;; [unrolled: 1-line block ×3, first 2 shown]
	v_add_f32_e32 v41, v43, v41
	v_add_f32_e32 v42, v44, v42
	v_fmamk_f32 v43, v97, 0xbe8c1d8e, v102
	v_fma_f32 v44, 0xbe8c1d8e, v107, -v114
	v_mul_f32_e32 v116, 0x3f2c7751, v141
	v_mul_f32_e32 v90, 0x3eb8f4ab, v162
	;; [unrolled: 1-line block ×3, first 2 shown]
	v_add_f32_e32 v41, v43, v41
	v_add_f32_e32 v42, v44, v42
	v_fmamk_f32 v43, v105, 0x3f3d2fb0, v98
	v_fma_f32 v44, 0x3f3d2fb0, v106, -v116
	v_mul_f32_e32 v115, 0xbeb8f4ab, v143
	v_fma_f32 v45, 0x3f6eb680, v122, -v90
	v_mul_f32_e32 v101, 0xbf7ee86f, v146
	v_add_f32_e32 v41, v43, v41
	v_add_f32_e32 v42, v44, v42
	v_fmamk_f32 v43, v108, 0x3f6eb680, v99
	v_fma_f32 v44, 0x3f6eb680, v109, -v115
	v_mul_f32_e32 v117, 0xbf7ee86f, v149
	v_mul_f32_e32 v125, 0xbf7ee86f, v37
	v_add_f32_e32 v1, v45, v1
	v_add_f32_e32 v41, v43, v41
	;; [unrolled: 1-line block ×3, first 2 shown]
	v_fmamk_f32 v43, v118, 0x3dbcf732, v101
	v_fma_f32 v44, 0x3dbcf732, v119, -v117
	v_fmamk_f32 v45, v70, 0x3dbcf732, v125
	v_mul_f32_e32 v126, 0xbe3c28d5, v39
	v_mul_f32_e32 v136, 0xbf7ee86f, v36
	v_add_f32_e32 v41, v43, v41
	v_add_f32_e32 v42, v44, v42
	;; [unrolled: 1-line block ×3, first 2 shown]
	v_fmamk_f32 v44, v75, 0xbf7ba420, v126
	v_fma_f32 v45, 0x3dbcf732, v71, -v136
	v_mul_f32_e32 v137, 0xbe3c28d5, v38
	v_mul_f32_e32 v123, 0x3f763a35, v50
	v_mul_f32_e32 v138, 0x3f763a35, v49
	v_add_f32_e32 v43, v44, v43
	v_add_f32_e32 v44, v45, v5
	v_fma_f32 v45, 0xbf7ba420, v82, -v137
	v_fmamk_f32 v46, v95, 0xbe8c1d8e, v123
	v_mul_f32_e32 v124, 0x3eb8f4ab, v81
	v_mul_f32_e32 v135, 0x3eb8f4ab, v130
	v_mul_f32_e32 v127, 0xbf65296c, v139
	v_add_f32_e32 v44, v45, v44
	v_add_f32_e32 v43, v46, v43
	v_fma_f32 v45, 0xbe8c1d8e, v96, -v138
	v_fmamk_f32 v46, v97, 0x3f6eb680, v124
	;; [unrolled: 7-line block ×3, first 2 shown]
	v_mul_f32_e32 v133, 0xbf06c442, v143
	v_mul_f32_e32 v128, 0x3f4c4adb, v146
	v_fmamk_f32 v47, v121, 0xbf59a7d5, v110
	v_add_f32_e32 v44, v45, v44
	v_add_f32_e32 v43, v46, v43
	v_fma_f32 v45, 0x3ee437d1, v106, -v132
	v_fmamk_f32 v46, v108, 0xbf59a7d5, v129
	v_mul_f32_e32 v120, 0xbf06c442, v162
	v_mul_f32_e32 v134, 0x3f4c4adb, v149
	;; [unrolled: 1-line block ×3, first 2 shown]
	v_add_f32_e32 v44, v45, v44
	v_add_f32_e32 v43, v46, v43
	v_fma_f32 v45, 0xbf59a7d5, v109, -v133
	v_fmamk_f32 v46, v118, 0xbf1a4643, v128
	v_add_f32_e32 v41, v47, v41
	v_fma_f32 v47, 0xbf59a7d5, v122, -v120
	v_mul_f32_e32 v145, 0x3f06c442, v39
	v_add_f32_e32 v44, v45, v44
	v_fma_f32 v45, 0xbf1a4643, v119, -v134
	v_add_f32_e32 v43, v46, v43
	v_fmamk_f32 v46, v70, 0xbe8c1d8e, v144
	v_mul_f32_e32 v155, 0xbf763a35, v36
	v_add_f32_e32 v42, v47, v42
	v_add_f32_e32 v44, v45, v44
	v_mul_f32_e32 v131, 0x3f2c7751, v161
	v_add_f32_e32 v45, v46, v4
	v_fmamk_f32 v46, v75, 0xbf59a7d5, v145
	v_fma_f32 v47, 0xbe8c1d8e, v71, -v155
	v_mul_f32_e32 v157, 0x3f06c442, v38
	v_mul_f32_e32 v147, 0x3f2c7751, v50
	v_fmamk_f32 v48, v121, 0x3f3d2fb0, v131
	v_add_f32_e32 v45, v46, v45
	v_add_f32_e32 v46, v47, v5
	v_fma_f32 v47, 0xbf59a7d5, v82, -v157
	v_fmamk_f32 v140, v95, 0x3f3d2fb0, v147
	v_mul_f32_e32 v153, 0x3f2c7751, v49
	v_mul_f32_e32 v148, 0xbf65296c, v81
	v_add_f32_e32 v43, v48, v43
	v_add_f32_e32 v46, v47, v46
	v_add_f32_e32 v45, v140, v45
	v_fma_f32 v47, 0x3f3d2fb0, v96, -v153
	v_fmamk_f32 v48, v97, 0x3ee437d1, v148
	v_mul_f32_e32 v154, 0xbf65296c, v130
	v_mul_f32_e32 v151, 0xbe3c28d5, v139
	;; [unrolled: 1-line block ×3, first 2 shown]
	v_add_f32_e32 v46, v47, v46
	v_add_f32_e32 v45, v48, v45
	v_fma_f32 v47, 0x3ee437d1, v107, -v154
	v_fmamk_f32 v48, v105, 0xbf7ba420, v151
	v_mul_f32_e32 v156, 0xbe3c28d5, v141
	v_mul_f32_e32 v150, 0x3f7ee86f, v142
	v_fma_f32 v158, 0x3f3d2fb0, v122, -v140
	v_add_f32_e32 v46, v47, v46
	v_add_f32_e32 v45, v48, v45
	v_fma_f32 v47, 0xbf7ba420, v106, -v156
	v_mul_f32_e32 v159, 0x3f7ee86f, v143
	v_fmamk_f32 v48, v108, 0x3dbcf732, v150
	v_mul_f32_e32 v152, 0xbeb8f4ab, v146
	v_add_f32_e32 v44, v158, v44
	v_add_f32_e32 v46, v47, v46
	v_fma_f32 v47, 0x3dbcf732, v109, -v159
	v_add_f32_e32 v45, v48, v45
	v_fmamk_f32 v48, v118, 0x3f6eb680, v152
	v_mul_f32_e32 v158, 0xbeb8f4ab, v149
	v_mul_f32_e32 v169, 0xbf4c4adb, v37
	;; [unrolled: 1-line block ×3, first 2 shown]
	v_add_f32_e32 v46, v47, v46
	v_add_f32_e32 v45, v48, v45
	v_fma_f32 v47, 0x3f6eb680, v119, -v158
	v_fmamk_f32 v48, v70, 0xbf1a4643, v169
	v_mul_f32_e32 v170, 0x3f763a35, v39
	v_fma_f32 v160, 0xbf1a4643, v71, -v172
	v_mul_f32_e32 v173, 0x3f763a35, v38
	v_add_f32_e32 v46, v47, v46
	v_add_f32_e32 v47, v48, v4
	v_fmamk_f32 v48, v75, 0xbe8c1d8e, v170
	v_add_f32_e32 v163, v160, v5
	v_fma_f32 v164, 0xbe8c1d8e, v82, -v173
	v_mul_f32_e32 v167, 0xbeb8f4ab, v50
	v_mul_f32_e32 v174, 0xbeb8f4ab, v49
	;; [unrolled: 1-line block ×3, first 2 shown]
	v_add_f32_e32 v47, v48, v47
	v_add_f32_e32 v48, v164, v163
	v_fmamk_f32 v163, v95, 0x3f6eb680, v167
	v_fma_f32 v165, 0x3f6eb680, v96, -v174
	v_mul_f32_e32 v164, 0xbf06c442, v81
	v_mul_f32_e32 v175, 0xbf06c442, v130
	v_fmamk_f32 v166, v121, 0xbf1a4643, v160
	v_add_f32_e32 v47, v163, v47
	v_add_f32_e32 v48, v165, v48
	v_fmamk_f32 v163, v97, 0xbf59a7d5, v164
	v_fma_f32 v168, 0xbf59a7d5, v107, -v175
	v_mul_f32_e32 v165, 0x3f7ee86f, v139
	v_mul_f32_e32 v176, 0x3f7ee86f, v141
	v_add_f32_e32 v45, v166, v45
	v_add_f32_e32 v47, v163, v47
	;; [unrolled: 1-line block ×3, first 2 shown]
	v_fmamk_f32 v168, v105, 0x3dbcf732, v165
	v_fma_f32 v171, 0x3dbcf732, v106, -v176
	v_mul_f32_e32 v166, 0xbf2c7751, v142
	v_mul_f32_e32 v163, 0xbf4c4adb, v162
	;; [unrolled: 1-line block ×5, first 2 shown]
	v_add_f32_e32 v47, v168, v47
	v_add_f32_e32 v48, v171, v48
	v_fmamk_f32 v171, v108, 0x3f3d2fb0, v166
	v_mul_f32_e32 v168, 0xbe3c28d5, v146
	v_fma_f32 v180, 0xbf1a4643, v122, -v163
	v_fmamk_f32 v183, v70, 0xbf59a7d5, v182
	v_mul_f32_e32 v185, 0x3f65296c, v39
	v_fma_f32 v186, 0xbf59a7d5, v71, -v189
	v_mul_f32_e32 v190, 0x3f65296c, v38
	v_fma_f32 v179, 0x3f3d2fb0, v109, -v178
	v_mul_f32_e32 v177, 0xbe3c28d5, v149
	v_add_f32_e32 v47, v171, v47
	v_fmamk_f32 v181, v118, 0xbf7ba420, v168
	v_add_f32_e32 v46, v180, v46
	v_add_f32_e32 v180, v183, v4
	v_fmamk_f32 v183, v75, 0x3ee437d1, v185
	v_add_f32_e32 v187, v186, v5
	v_fma_f32 v188, 0x3ee437d1, v82, -v190
	v_mul_f32_e32 v186, 0xbf7ee86f, v50
	v_mul_f32_e32 v192, 0xbf7ee86f, v49
	v_add_f32_e32 v48, v179, v48
	v_fma_f32 v184, 0xbf7ba420, v119, -v177
	v_add_f32_e32 v47, v181, v47
	v_add_f32_e32 v180, v183, v180
	v_add_f32_e32 v181, v188, v187
	v_fmamk_f32 v187, v95, 0x3dbcf732, v186
	v_fma_f32 v188, 0x3dbcf732, v96, -v192
	v_mul_f32_e32 v183, 0x3f4c4adb, v81
	v_mul_f32_e32 v194, 0x3f4c4adb, v130
	v_add_f32_e32 v48, v184, v48
	v_add_f32_e32 v180, v187, v180
	;; [unrolled: 1-line block ×3, first 2 shown]
	v_fmamk_f32 v187, v97, 0xbf1a4643, v183
	v_fma_f32 v188, 0xbf1a4643, v107, -v194
	v_mul_f32_e32 v184, 0xbeb8f4ab, v139
	v_mul_f32_e32 v191, 0xbeb8f4ab, v141
	;; [unrolled: 1-line block ×3, first 2 shown]
	v_add_f32_e32 v187, v187, v180
	v_add_f32_e32 v181, v188, v181
	v_fmamk_f32 v188, v105, 0x3f6eb680, v184
	v_fma_f32 v196, 0x3f6eb680, v106, -v191
	v_mul_f32_e32 v180, 0xbe3c28d5, v142
	v_mul_f32_e32 v179, 0x3f65296c, v162
	v_fmamk_f32 v195, v121, 0x3ee437d1, v171
	v_mul_f32_e32 v193, 0xbe3c28d5, v143
	v_add_f32_e32 v187, v188, v187
	v_add_f32_e32 v196, v196, v181
	v_fmamk_f32 v198, v108, 0xbf7ba420, v180
	v_mul_f32_e32 v181, 0x3f2c7751, v146
	v_fma_f32 v197, 0x3ee437d1, v122, -v179
	v_fma_f32 v199, 0xbf7ba420, v109, -v193
	v_mul_f32_e32 v188, 0x3f2c7751, v149
	v_add_f32_e32 v47, v195, v47
	v_add_f32_e32 v187, v198, v187
	v_fmamk_f32 v195, v118, 0x3f3d2fb0, v181
	v_mul_f32_e32 v37, 0xbe3c28d5, v37
	v_add_f32_e32 v196, v199, v196
	v_fma_f32 v198, 0x3f3d2fb0, v119, -v188
	v_add_f32_e32 v48, v197, v48
	v_add_f32_e32 v195, v195, v187
	v_mul_f32_e32 v36, 0xbe3c28d5, v36
	v_mul_f32_e32 v187, 0xbf763a35, v161
	v_fma_f32 v197, 0xbf7ba420, v70, -v37
	v_mul_f32_e32 v39, 0x3eb8f4ab, v39
	v_add_f32_e32 v196, v198, v196
	v_fmamk_f32 v198, v71, 0xbf7ba420, v36
	v_mul_f32_e32 v38, 0x3eb8f4ab, v38
	v_fmamk_f32 v199, v121, 0xbe8c1d8e, v187
	v_add_f32_e32 v197, v197, v4
	v_fma_f32 v200, 0x3f6eb680, v75, -v39
	v_mul_f32_e32 v50, 0xbf06c442, v50
	v_fmac_f32_e32 v37, 0xbf7ba420, v70
	v_fma_f32 v36, 0xbf7ba420, v71, -v36
	v_add_f32_e32 v198, v198, v5
	v_fmamk_f32 v201, v82, 0x3f6eb680, v38
	v_mul_f32_e32 v202, 0xbf06c442, v49
	v_add_f32_e32 v49, v199, v195
	v_add_f32_e32 v197, v200, v197
	v_fma_f32 v199, 0xbf59a7d5, v95, -v50
	v_mul_f32_e32 v81, 0x3f2c7751, v81
	v_add_f32_e32 v37, v37, v4
	v_fmac_f32_e32 v39, 0x3f6eb680, v75
	v_add_f32_e32 v36, v36, v5
	v_fma_f32 v38, 0x3f6eb680, v82, -v38
	v_add_f32_e32 v198, v201, v198
	v_fmamk_f32 v200, v96, 0xbf59a7d5, v202
	v_mul_f32_e32 v130, 0x3f2c7751, v130
	v_add_f32_e32 v197, v199, v197
	v_fma_f32 v199, 0x3f3d2fb0, v97, -v81
	v_mul_f32_e32 v139, 0xbf4c4adb, v139
	v_add_f32_e32 v37, v39, v37
	v_fmac_f32_e32 v50, 0xbf59a7d5, v95
	v_add_f32_e32 v36, v38, v36
	v_fma_f32 v38, 0xbf59a7d5, v96, -v202
	v_add_f32_e32 v198, v200, v198
	v_fmamk_f32 v200, v107, 0x3f3d2fb0, v130
	v_mul_f32_e32 v141, 0xbf4c4adb, v141
	;; [unrolled: 10-line block ×3, first 2 shown]
	v_add_f32_e32 v197, v199, v197
	v_fma_f32 v199, 0x3ee437d1, v108, -v142
	v_mul_f32_e32 v39, 0xbf763a35, v146
	v_add_f32_e32 v37, v81, v37
	v_fmac_f32_e32 v139, 0xbf1a4643, v105
	v_add_f32_e32 v36, v38, v36
	v_fma_f32 v38, 0xbf1a4643, v106, -v141
	v_add_f32_e32 v198, v200, v198
	v_fmamk_f32 v200, v109, 0x3ee437d1, v143
	v_add_f32_e32 v197, v199, v197
	v_mul_f32_e32 v146, 0xbf763a35, v149
	v_fma_f32 v50, 0xbe8c1d8e, v118, -v39
	v_add_f32_e32 v37, v139, v37
	v_fmac_f32_e32 v142, 0x3ee437d1, v108
	v_add_f32_e32 v36, v38, v36
	v_fma_f32 v38, 0x3ee437d1, v109, -v143
	s_clause 0x1
	s_load_dwordx2 s[6:7], s[4:5], 0x20
	s_load_dwordx2 s[2:3], s[4:5], 0x8
	v_mul_f32_e32 v195, 0xbf763a35, v162
	v_add_f32_e32 v198, v200, v198
	v_fmamk_f32 v149, v119, 0xbe8c1d8e, v146
	v_add_f32_e32 v81, v50, v197
	v_mul_f32_e32 v139, 0x3f7ee86f, v161
	v_mul_f32_e32 v50, 0x3f7ee86f, v162
	v_add_f32_e32 v37, v142, v37
	v_fmac_f32_e32 v39, 0xbe8c1d8e, v118
	v_add_f32_e32 v36, v38, v36
	v_fma_f32 v38, 0xbe8c1d8e, v119, -v146
	v_fma_f32 v201, 0xbe8c1d8e, v122, -v195
	v_add_f32_e32 v130, v149, v198
	v_fma_f32 v141, 0x3dbcf732, v121, -v139
	v_fmamk_f32 v142, v122, 0x3dbcf732, v50
	v_add_f32_e32 v39, v39, v37
	v_fmac_f32_e32 v139, 0x3dbcf732, v121
	v_add_f32_e32 v143, v38, v36
	v_fma_f32 v146, 0x3dbcf732, v122, -v50
	v_add_f32_e32 v50, v201, v196
	v_add_f32_e32 v36, v141, v81
	;; [unrolled: 1-line block ×5, first 2 shown]
	v_mul_lo_u16 v81, v79, 17
	s_waitcnt lgkmcnt(0)
	s_barrier
	buffer_gl0_inv
	s_and_saveexec_b32 s0, vcc_lo
	s_cbranch_execz .LBB0_7
; %bb.6:
	v_mul_f32_e32 v139, 0x3f6eb680, v71
	v_mul_f32_e32 v142, 0x3f3d2fb0, v71
	;; [unrolled: 1-line block ×14, first 2 shown]
	v_add_f32_e32 v71, v189, v71
	v_mul_f32_e32 v199, 0xbf59a7d5, v70
	v_mul_f32_e32 v212, 0x3ee437d1, v96
	;; [unrolled: 1-line block ×8, first 2 shown]
	v_add_f32_e32 v71, v71, v5
	v_add_f32_e32 v82, v190, v82
	v_mul_f32_e32 v130, 0x3f6eb680, v70
	v_mul_f32_e32 v141, 0x3f3d2fb0, v70
	;; [unrolled: 1-line block ×20, first 2 shown]
	v_add_f32_e32 v71, v82, v71
	v_add_f32_e32 v82, v192, v96
	v_sub_f32_e32 v182, v199, v182
	v_mul_f32_e32 v211, 0x3ee437d1, v95
	v_mul_f32_e32 v213, 0xbf1a4643, v95
	;; [unrolled: 1-line block ×14, first 2 shown]
	v_add_f32_e32 v71, v82, v71
	v_add_f32_e32 v82, v194, v107
	v_sub_f32_e32 v75, v75, v185
	v_add_f32_e32 v182, v182, v4
	v_add_f32_e32 v172, v172, v198
	v_mul_f32_e32 v223, 0x3dbcf732, v97
	v_mul_f32_e32 v225, 0xbf7ba420, v97
	;; [unrolled: 1-line block ×15, first 2 shown]
	v_add_f32_e32 v71, v82, v71
	v_add_f32_e32 v106, v191, v106
	;; [unrolled: 1-line block ×3, first 2 shown]
	v_sub_f32_e32 v95, v95, v186
	v_add_f32_e32 v173, v173, v210
	v_add_f32_e32 v172, v172, v5
	v_mul_f32_e32 v235, 0xbe8c1d8e, v105
	v_mul_f32_e32 v237, 0xbf59a7d5, v105
	v_mul_f32_e32 v239, 0x3f3d2fb0, v105
	v_mul_f32_e32 v241, 0x3ee437d1, v105
	v_mul_f32_e32 v243, 0xbf7ba420, v105
	v_mul_f32_e32 v245, 0x3dbcf732, v105
	v_mul_f32_e32 v105, 0x3f6eb680, v105
	v_mul_f32_e32 v194, 0xbf59a7d5, v119
	v_mul_f32_e32 v199, 0x3ee437d1, v119
	v_mul_f32_e32 v185, 0x3dbcf732, v119
	v_add_f32_e32 v71, v106, v71
	v_add_f32_e32 v106, v193, v108
	v_mul_f32_e32 v108, 0xbf1a4643, v119
	v_mul_f32_e32 v186, 0x3f6eb680, v119
	v_add_f32_e32 v75, v95, v75
	v_mul_f32_e32 v95, 0xbf7ba420, v119
	v_mul_f32_e32 v119, 0x3f3d2fb0, v119
	v_sub_f32_e32 v97, v97, v183
	v_add_f32_e32 v172, v173, v172
	v_add_f32_e32 v174, v174, v222
	;; [unrolled: 1-line block ×3, first 2 shown]
	v_mul_f32_e32 v183, 0xbf7ba420, v122
	v_add_f32_e32 v75, v97, v75
	v_mul_f32_e32 v97, 0x3f6eb680, v122
	v_sub_f32_e32 v105, v105, v184
	v_mul_f32_e32 v173, 0xbf59a7d5, v122
	v_add_f32_e32 v119, v188, v119
	v_mul_f32_e32 v188, 0x3f3d2fb0, v122
	v_add_f32_e32 v172, v174, v172
	;; [unrolled: 2-line block ×3, first 2 shown]
	v_sub_f32_e32 v107, v107, v180
	v_mul_f32_e32 v180, 0x3ee437d1, v122
	v_mul_f32_e32 v122, 0xbe8c1d8e, v122
	;; [unrolled: 1-line block ×15, first 2 shown]
	v_add_f32_e32 v75, v105, v75
	v_add_f32_e32 v172, v175, v172
	;; [unrolled: 1-line block ×5, first 2 shown]
	v_mul_f32_e32 v193, 0xbf7ba420, v121
	v_mul_f32_e32 v198, 0x3f6eb680, v121
	;; [unrolled: 1-line block ×7, first 2 shown]
	v_add_f32_e32 v75, v107, v75
	v_sub_f32_e32 v107, v118, v181
	v_add_f32_e32 v118, v175, v172
	v_add_f32_e32 v122, v178, v96
	;; [unrolled: 1-line block ×3, first 2 shown]
	v_sub_f32_e32 v71, v197, v169
	v_add_f32_e32 v75, v107, v75
	v_sub_f32_e32 v107, v121, v187
	v_add_f32_e32 v118, v122, v118
	v_add_f32_e32 v119, v177, v95
	v_add_f32_e32 v71, v71, v4
	v_sub_f32_e32 v121, v209, v170
	v_add_f32_e32 v95, v107, v75
	v_add_f32_e32 v75, v155, v196
	;; [unrolled: 1-line block ×5, first 2 shown]
	v_sub_f32_e32 v121, v221, v167
	v_sub_f32_e32 v83, v141, v83
	v_add_f32_e32 v7, v7, v5
	v_add_f32_e32 v6, v6, v4
	v_add_f32_e32 v75, v75, v5
	v_add_f32_e32 v122, v157, v208
	v_add_f32_e32 v71, v118, v107
	v_sub_f32_e32 v107, v162, v144
	v_add_f32_e32 v118, v121, v119
	v_sub_f32_e32 v119, v233, v164
	v_add_f32_e32 v83, v83, v4
	v_sub_f32_e32 v84, v201, v84
	v_add_f32_e32 v7, v29, v7
	v_add_f32_e32 v6, v28, v6
	v_add_f32_e32 v75, v122, v75
	v_add_f32_e32 v121, v153, v220
	v_add_f32_e32 v107, v107, v4
	v_sub_f32_e32 v122, v207, v145
	v_add_f32_e32 v118, v119, v118
	v_sub_f32_e32 v119, v245, v165
	v_add_f32_e32 v83, v84, v83
	;; [unrolled: 10-line block ×4, first 2 shown]
	v_sub_f32_e32 v84, v237, v87
	v_add_f32_e32 v7, v27, v7
	v_add_f32_e32 v24, v26, v24
	v_add_f32_e32 v75, v121, v75
	v_add_f32_e32 v119, v159, v253
	v_add_f32_e32 v107, v122, v107
	v_sub_f32_e32 v121, v243, v151
	v_add_f32_e32 v118, v106, v118
	v_add_f32_e32 v106, v136, v161
	v_sub_f32_e32 v100, v143, v100
	v_add_f32_e32 v83, v84, v83
	v_sub_f32_e32 v28, v248, v72
	v_add_f32_e32 v7, v33, v7
	v_add_f32_e32 v24, v32, v24
	;; [unrolled: 1-line block ×5, first 2 shown]
	v_sub_f32_e32 v121, v192, v150
	v_add_f32_e32 v106, v106, v5
	v_add_f32_e32 v122, v137, v206
	;; [unrolled: 1-line block ×3, first 2 shown]
	v_sub_f32_e32 v103, v203, v103
	v_add_f32_e32 v28, v28, v83
	v_sub_f32_e32 v30, v82, v73
	v_add_f32_e32 v7, v35, v7
	v_add_f32_e32 v24, v34, v24
	;; [unrolled: 1-line block ×5, first 2 shown]
	v_sub_f32_e32 v121, v182, v152
	v_add_f32_e32 v122, v122, v106
	v_add_f32_e32 v136, v138, v218
	v_sub_f32_e32 v125, v149, v125
	v_add_f32_e32 v111, v111, v146
	v_add_f32_e32 v100, v103, v100
	;; [unrolled: 3-line block ×3, first 2 shown]
	v_add_f32_e32 v28, v56, v139
	v_sub_f32_e32 v27, v130, v54
	v_add_f32_e32 v7, v21, v7
	v_add_f32_e32 v20, v20, v24
	;; [unrolled: 1-line block ×7, first 2 shown]
	v_sub_f32_e32 v122, v205, v126
	v_add_f32_e32 v111, v111, v5
	v_add_f32_e32 v100, v103, v100
	;; [unrolled: 1-line block ×6, first 2 shown]
	v_sub_f32_e32 v27, v70, v53
	v_add_f32_e32 v7, v23, v7
	v_add_f32_e32 v20, v22, v20
	v_add_f32_e32 v107, v119, v107
	v_add_f32_e32 v119, v132, v242
	v_add_f32_e32 v121, v122, v121
	v_sub_f32_e32 v122, v217, v123
	v_add_f32_e32 v112, v112, v204
	v_add_f32_e32 v93, v93, v202
	v_add_f32_e32 v5, v28, v5
	v_add_f32_e32 v28, v59, v212
	v_add_f32_e32 v4, v27, v4
	;; [unrolled: 6-line block ×4, first 2 shown]
	v_add_f32_e32 v24, v62, v224
	v_add_f32_e32 v4, v21, v4
	v_sub_f32_e32 v21, v223, v58
	v_add_f32_e32 v7, v19, v7
	v_add_f32_e32 v16, v18, v16
	v_sub_f32_e32 v105, v105, v160
	v_add_f32_e32 v107, v119, v107
	v_add_f32_e32 v108, v134, v108
	;; [unrolled: 1-line block ×3, first 2 shown]
	v_sub_f32_e32 v119, v241, v127
	v_add_f32_e32 v111, v112, v111
	v_add_f32_e32 v112, v114, v228
	v_sub_f32_e32 v102, v227, v102
	v_add_f32_e32 v88, v88, v93
	v_add_f32_e32 v89, v89, v226
	v_add_f32_e32 v5, v24, v5
	v_add_f32_e32 v17, v63, v236
	v_add_f32_e32 v4, v21, v4
	v_sub_f32_e32 v20, v235, v60
	v_add_f32_e32 v7, v13, v7
	v_add_f32_e32 v12, v12, v16
	v_add_f32_e32 v105, v105, v75
	;; [unrolled: 6-line block ×3, first 2 shown]
	v_sub_f32_e32 v98, v239, v98
	v_add_f32_e32 v88, v89, v88
	v_add_f32_e32 v89, v92, v238
	;; [unrolled: 1-line block ×5, first 2 shown]
	v_sub_f32_e32 v13, v189, v64
	v_add_f32_e32 v7, v15, v7
	v_add_f32_e32 v12, v14, v12
	v_add_f32_e32 v107, v108, v107
	v_sub_f32_e32 v108, v255, v128
	v_add_f32_e32 v111, v112, v111
	v_add_f32_e32 v112, v115, v250
	v_add_f32_e32 v98, v98, v100
	;; [unrolled: 4-line block ×3, first 2 shown]
	v_add_f32_e32 v16, v67, v194
	v_add_f32_e32 v4, v13, v4
	v_sub_f32_e32 v13, v109, v66
	v_add_f32_e32 v7, v9, v7
	v_add_f32_e32 v8, v8, v12
	;; [unrolled: 1-line block ×6, first 2 shown]
	v_sub_f32_e32 v93, v191, v101
	v_add_f32_e32 v87, v89, v88
	v_add_f32_e32 v74, v74, v199
	;; [unrolled: 1-line block ×5, first 2 shown]
	v_sub_f32_e32 v12, v193, v68
	v_add_f32_e32 v11, v11, v7
	v_add_f32_e32 v13, v10, v8
	v_and_b32_e32 v14, 0xffff, v81
	v_add_f32_e32 v108, v111, v108
	v_add_f32_e32 v111, v120, v173
	;; [unrolled: 1-line block ×3, first 2 shown]
	v_sub_f32_e32 v86, v184, v110
	v_add_f32_e32 v29, v74, v87
	v_add_f32_e32 v72, v90, v97
	v_sub_f32_e32 v26, v198, v76
	v_add_f32_e32 v113, v140, v188
	v_sub_f32_e32 v104, v210, v131
	v_sub_f32_e32 v137, v222, v171
	v_add_f32_e32 v8, v9, v5
	v_add_f32_e32 v7, v12, v4
	;; [unrolled: 1-line block ×4, first 2 shown]
	v_add_lshl_u32 v4, v61, v14, 3
	v_add_f32_e32 v91, v111, v108
	v_add_f32_e32 v90, v86, v85
	;; [unrolled: 1-line block ×7, first 2 shown]
	ds_write2_b64 v4, v[9:10], v[7:8] offset1:1
	ds_write2_b64 v4, v[5:6], v[90:91] offset0:2 offset1:3
	ds_write2_b64 v4, v[74:75], v[105:106] offset0:4 offset1:5
	;; [unrolled: 1-line block ×7, first 2 shown]
	ds_write_b64 v4, v[2:3] offset:128
.LBB0_7:
	s_or_b32 exec_lo, exec_lo, s0
	v_add_lshl_u32 v83, v61, v79, 3
	s_waitcnt lgkmcnt(0)
	s_barrier
	buffer_gl0_inv
	v_cmp_gt_u16_e64 s0, 17, v79
	ds_read2_b64 v[4:7], v83 offset1:34
	ds_read2_b64 v[12:15], v83 offset0:153 offset1:187
	ds_read2_b64 v[8:11], v83 offset0:68 offset1:102
	;; [unrolled: 1-line block ×3, first 2 shown]
	s_and_saveexec_b32 s1, s0
	s_cbranch_execz .LBB0_9
; %bb.8:
	v_add_nc_u32_e32 v20, 0x400, v83
	ds_read2_b64 v[36:39], v20 offset0:8 offset1:161
.LBB0_9:
	s_or_b32 exec_lo, exec_lo, s1
	v_add_nc_u16 v23, v79, 34
	v_add_co_u32 v22, s1, 0xffffffef, v79
	v_add_co_ci_u32_e64 v21, null, 0, -1, s1
	v_and_b32_e32 v20, 0xff, v23
	v_add_nc_u16 v24, v79, 0x44
	v_add_nc_u16 v26, v79, 0x88
	;; [unrolled: 1-line block ×3, first 2 shown]
	v_cndmask_b32_e64 v21, v21, 0, s0
	v_mul_lo_u16 v28, 0xf1, v20
	v_cndmask_b32_e64 v20, v22, v79, s0
	v_and_b32_e32 v27, 0xff, v24
	v_and_b32_e32 v30, 0xff, v26
	;; [unrolled: 1-line block ×3, first 2 shown]
	v_lshrrev_b16 v28, 12, v28
	v_lshlrev_b64 v[21:22], 3, v[20:21]
	v_mul_lo_u16 v27, 0xf1, v27
	v_mul_lo_u16 v30, 0xf1, v30
	;; [unrolled: 1-line block ×4, first 2 shown]
	v_add_co_u32 v21, s1, s2, v21
	v_lshrrev_b16 v27, 12, v27
	v_lshrrev_b16 v30, 12, v30
	v_add_co_ci_u32_e64 v22, s1, s3, v22, s1
	v_lshrrev_b16 v29, 12, v29
	v_sub_nc_u16 v23, v23, v31
	v_mul_lo_u16 v31, v27, 17
	v_mul_lo_u16 v30, v30, 17
	global_load_dwordx2 v[55:56], v[21:22], off
	v_mul_lo_u16 v21, v29, 17
	v_mov_b32_e32 v22, 3
	v_sub_nc_u16 v24, v24, v31
	v_sub_nc_u16 v26, v26, v30
	v_cmp_lt_u16_e64 s1, 16, v79
	v_sub_nc_u16 v21, v25, v21
	v_lshlrev_b32_sdwa v25, v22, v23 dst_sel:DWORD dst_unused:UNUSED_PAD src0_sel:DWORD src1_sel:BYTE_0
	v_lshlrev_b32_sdwa v30, v22, v24 dst_sel:DWORD dst_unused:UNUSED_PAD src0_sel:DWORD src1_sel:BYTE_0
	v_and_b32_e32 v84, 0xff, v26
	v_mad_u16 v23, v28, 34, v23
	v_lshlrev_b32_sdwa v22, v22, v21 dst_sel:DWORD dst_unused:UNUSED_PAD src0_sel:DWORD src1_sel:BYTE_0
	s_clause 0x2
	global_load_dwordx2 v[59:60], v25, s[2:3]
	global_load_dwordx2 v[57:58], v30, s[2:3]
	;; [unrolled: 1-line block ×3, first 2 shown]
	v_lshlrev_b32_e32 v22, 3, v84
	v_mov_b32_e32 v25, 34
	s_load_dwordx4 s[4:7], s[6:7], 0x0
	global_load_dwordx2 v[51:52], v22, s[2:3]
	v_cndmask_b32_e64 v22, 0, 34, s1
	s_waitcnt vmcnt(0) lgkmcnt(0)
	s_barrier
	buffer_gl0_inv
	v_add_nc_u32_e32 v20, v20, v22
	v_mul_u32_u24_sdwa v22, v27, v25 dst_sel:DWORD dst_unused:UNUSED_PAD src0_sel:WORD_0 src1_sel:DWORD
	v_mul_u32_u24_sdwa v25, v29, v25 dst_sel:DWORD dst_unused:UNUSED_PAD src0_sel:WORD_0 src1_sel:DWORD
	v_add_lshl_u32 v87, v61, v20, 3
	v_add_nc_u32_sdwa v20, v22, v24 dst_sel:DWORD dst_unused:UNUSED_PAD src0_sel:DWORD src1_sel:BYTE_0
	v_add_nc_u32_sdwa v21, v25, v21 dst_sel:DWORD dst_unused:UNUSED_PAD src0_sel:DWORD src1_sel:BYTE_0
	v_and_b32_e32 v22, 0xff, v23
	v_add_lshl_u32 v86, v61, v20, 3
	v_add_lshl_u32 v85, v61, v21, 3
	;; [unrolled: 1-line block ×3, first 2 shown]
	v_mul_f32_e32 v24, v12, v56
	v_mul_f32_e32 v23, v13, v56
	v_fmac_f32_e32 v24, v13, v55
	v_fma_f32 v12, v12, v55, -v23
	v_sub_f32_e32 v13, v5, v24
	v_sub_f32_e32 v12, v4, v12
	v_mul_f32_e32 v21, v14, v60
	v_mul_f32_e32 v20, v15, v60
	;; [unrolled: 1-line block ×6, first 2 shown]
	v_fmac_f32_e32 v21, v15, v59
	v_fma_f32 v16, v16, v57, -v22
	v_fma_f32 v14, v14, v59, -v20
	v_mul_f32_e32 v15, v39, v52
	v_mul_f32_e32 v22, v38, v52
	v_fmac_f32_e32 v23, v17, v57
	v_fma_f32 v18, v18, v53, -v24
	v_fmac_f32_e32 v25, v19, v53
	v_fma_f32 v20, v38, v51, -v15
	v_fmac_f32_e32 v22, v39, v51
	v_sub_f32_e32 v14, v6, v14
	v_sub_f32_e32 v15, v7, v21
	;; [unrolled: 1-line block ×6, first 2 shown]
	v_fma_f32 v4, v4, 2.0, -v12
	v_fma_f32 v5, v5, 2.0, -v13
	v_sub_f32_e32 v20, v36, v20
	v_sub_f32_e32 v21, v37, v22
	v_fma_f32 v6, v6, 2.0, -v14
	v_fma_f32 v7, v7, 2.0, -v15
	;; [unrolled: 1-line block ×6, first 2 shown]
	ds_write2_b64 v87, v[4:5], v[12:13] offset1:17
	ds_write2_b64 v88, v[6:7], v[14:15] offset1:17
	;; [unrolled: 1-line block ×4, first 2 shown]
	s_and_saveexec_b32 s1, s0
	s_cbranch_execz .LBB0_11
; %bb.10:
	v_add_lshl_u32 v6, v61, v84, 3
	v_fma_f32 v5, v37, 2.0, -v21
	v_fma_f32 v4, v36, 2.0, -v20
	v_add_nc_u32_e32 v6, 0x800, v6
	ds_write2_b64 v6, v[4:5], v[20:21] offset0:16 offset1:33
.LBB0_11:
	s_or_b32 exec_lo, exec_lo, s1
	v_lshlrev_b32_e32 v4, 6, v79
	s_waitcnt lgkmcnt(0)
	s_barrier
	buffer_gl0_inv
	v_lshl_add_u32 v82, v79, 3, v80
	s_clause 0x3
	global_load_dwordx4 v[16:19], v4, s[2:3] offset:136
	global_load_dwordx4 v[12:15], v4, s[2:3] offset:152
	;; [unrolled: 1-line block ×4, first 2 shown]
	ds_read2_b64 v[22:25], v83 offset1:34
	ds_read2_b64 v[26:29], v83 offset0:68 offset1:102
	ds_read2_b64 v[30:33], v83 offset0:136 offset1:170
	;; [unrolled: 1-line block ×3, first 2 shown]
	ds_read_b64 v[38:39], v83 offset:2176
	v_add_nc_u32_e32 v63, 0x400, v82
	s_waitcnt vmcnt(3) lgkmcnt(4)
	v_mul_f32_e32 v61, v25, v17
	v_mul_f32_e32 v62, v24, v17
	s_waitcnt lgkmcnt(3)
	v_mul_f32_e32 v64, v27, v19
	v_mul_f32_e32 v65, v26, v19
	s_waitcnt vmcnt(2)
	v_mul_f32_e32 v66, v29, v13
	s_waitcnt lgkmcnt(2)
	v_mul_f32_e32 v68, v31, v15
	v_mul_f32_e32 v69, v30, v15
	s_waitcnt vmcnt(1)
	v_mul_f32_e32 v70, v33, v9
	v_mul_f32_e32 v71, v32, v9
	s_waitcnt vmcnt(0) lgkmcnt(1)
	v_mul_f32_e32 v74, v37, v5
	v_mul_f32_e32 v75, v36, v5
	s_waitcnt lgkmcnt(0)
	v_mul_f32_e32 v76, v39, v7
	v_mul_f32_e32 v89, v38, v7
	;; [unrolled: 1-line block ×5, first 2 shown]
	v_fma_f32 v24, v24, v16, -v61
	v_fmac_f32_e32 v62, v25, v16
	v_fma_f32 v25, v26, v18, -v64
	v_fmac_f32_e32 v65, v27, v18
	v_fma_f32 v26, v28, v12, -v66
	v_fma_f32 v27, v30, v14, -v68
	v_fmac_f32_e32 v69, v31, v14
	v_fma_f32 v28, v32, v8, -v70
	v_fmac_f32_e32 v71, v33, v8
	;; [unrolled: 2-line block ×4, first 2 shown]
	v_fmac_f32_e32 v67, v29, v12
	v_fma_f32 v29, v34, v10, -v72
	v_fmac_f32_e32 v73, v35, v10
	v_add_f32_e32 v32, v24, v30
	v_add_f32_e32 v33, v62, v89
	;; [unrolled: 1-line block ×4, first 2 shown]
	v_sub_f32_e32 v30, v24, v30
	v_sub_f32_e32 v38, v62, v89
	;; [unrolled: 1-line block ×5, first 2 shown]
	v_add_f32_e32 v64, v27, v28
	v_add_f32_e32 v65, v69, v71
	;; [unrolled: 1-line block ×4, first 2 shown]
	v_sub_f32_e32 v31, v25, v31
	v_sub_f32_e32 v26, v26, v29
	v_sub_f32_e32 v29, v67, v73
	v_mul_f32_e32 v66, 0x3f248dbb, v30
	v_mul_f32_e32 v67, 0x3f248dbb, v38
	v_fmamk_f32 v68, v32, 0x3f441b7d, v22
	v_fmamk_f32 v70, v33, 0x3f441b7d, v23
	v_mul_f32_e32 v72, 0xbf248dbb, v61
	v_mul_f32_e32 v73, 0xbf248dbb, v62
	v_fmamk_f32 v74, v64, 0x3f441b7d, v22
	v_fmamk_f32 v75, v65, 0x3f441b7d, v23
	v_add_f32_e32 v90, v34, v32
	v_add_f32_e32 v91, v35, v33
	v_mul_f32_e32 v92, 0x3f7c1c5c, v61
	v_mul_f32_e32 v93, 0x3f7c1c5c, v62
	v_fmamk_f32 v94, v34, 0x3f441b7d, v22
	v_fmamk_f32 v95, v35, 0x3f441b7d, v23
	v_fmac_f32_e32 v66, 0x3f7c1c5c, v31
	v_fmac_f32_e32 v67, 0x3f7c1c5c, v39
	;; [unrolled: 1-line block ×8, first 2 shown]
	v_add_f32_e32 v96, v64, v90
	v_add_f32_e32 v97, v65, v91
	v_fma_f32 v92, 0xbf248dbb, v31, -v92
	v_fma_f32 v93, 0xbf248dbb, v39, -v93
	v_add_f32_e32 v90, v36, v90
	v_add_f32_e32 v91, v37, v91
	v_fmac_f32_e32 v94, 0x3e31d0d4, v64
	v_fmac_f32_e32 v95, 0x3e31d0d4, v65
	v_add_f32_e32 v76, v61, v30
	v_add_f32_e32 v89, v62, v38
	;; [unrolled: 1-line block ×4, first 2 shown]
	v_fmac_f32_e32 v66, 0x3f5db3d7, v26
	v_fmac_f32_e32 v67, 0x3f5db3d7, v29
	v_fmac_f32_e32 v68, -0.5, v36
	v_fmac_f32_e32 v70, -0.5, v37
	v_fmac_f32_e32 v72, 0xbf5db3d7, v26
	v_fmac_f32_e32 v73, 0xbf5db3d7, v29
	v_fmac_f32_e32 v74, -0.5, v36
	v_fmac_f32_e32 v75, -0.5, v37
	v_fmac_f32_e32 v92, 0x3f5db3d7, v26
	v_fmac_f32_e32 v93, 0x3f5db3d7, v29
	v_add_f32_e32 v26, v27, v90
	v_add_f32_e32 v27, v69, v91
	v_fmac_f32_e32 v94, -0.5, v36
	v_fmac_f32_e32 v95, -0.5, v37
	v_sub_f32_e32 v76, v76, v31
	v_sub_f32_e32 v89, v89, v39
	v_fmac_f32_e32 v24, -0.5, v96
	v_fmac_f32_e32 v25, -0.5, v97
	v_fmac_f32_e32 v66, 0x3eaf1d44, v61
	v_fmac_f32_e32 v67, 0x3eaf1d44, v62
	;; [unrolled: 1-line block ×10, first 2 shown]
	v_add_f32_e32 v26, v28, v26
	v_add_f32_e32 v27, v71, v27
	v_fmac_f32_e32 v94, 0xbf708fb2, v32
	v_fmac_f32_e32 v95, 0xbf708fb2, v33
	v_mul_f32_e32 v98, 0x3f5db3d7, v76
	v_mul_f32_e32 v99, 0x3f5db3d7, v89
	v_fmac_f32_e32 v24, 0x3f5db3d7, v89
	v_fmac_f32_e32 v25, 0xbf5db3d7, v76
	v_add_f32_e32 v36, v67, v68
	v_sub_f32_e32 v37, v70, v66
	v_add_f32_e32 v38, v73, v74
	v_sub_f32_e32 v39, v75, v72
	v_add_f32_e32 v61, v26, v22
	v_add_f32_e32 v62, v27, v23
	;; [unrolled: 1-line block ×3, first 2 shown]
	v_sub_f32_e32 v27, v95, v92
	v_fma_f32 v34, -2.0, v99, v24
	v_fma_f32 v35, 2.0, v98, v25
	v_fma_f32 v30, -2.0, v67, v36
	v_fma_f32 v31, 2.0, v66, v37
	v_fma_f32 v28, -2.0, v73, v38
	v_fma_f32 v32, -2.0, v93, v26
	v_fma_f32 v33, 2.0, v92, v27
	v_fma_f32 v29, 2.0, v72, v39
	ds_write_b64 v82, v[61:62]
	ds_write2_b64 v82, v[36:37], v[38:39] offset0:34 offset1:68
	ds_write2_b64 v82, v[24:25], v[26:27] offset0:102 offset1:136
	;; [unrolled: 1-line block ×4, first 2 shown]
	s_waitcnt lgkmcnt(0)
	s_barrier
	buffer_gl0_inv
	s_and_saveexec_b32 s8, vcc_lo
	s_cbranch_execz .LBB0_13
; %bb.12:
	s_add_u32 s2, s12, 0x990
	s_addc_u32 s3, s13, 0
	v_add_co_u32 v63, s1, s2, v78
	s_clause 0x8
	global_load_dwordx2 v[22:23], v78, s[2:3]
	global_load_dwordx2 v[75:76], v78, s[2:3] offset:144
	global_load_dwordx2 v[109:110], v78, s[2:3] offset:288
	;; [unrolled: 1-line block ×8, first 2 shown]
	v_add_co_ci_u32_e64 v64, null, s3, 0, s1
	v_add_co_u32 v63, s1, 0x800, v63
	v_or_b32_e32 v65, 0x900, v78
	v_add_co_ci_u32_e64 v64, s1, 0, v64, s1
	s_clause 0x7
	global_load_dwordx2 v[123:124], v78, s[2:3] offset:1296
	global_load_dwordx2 v[125:126], v78, s[2:3] offset:1440
	;; [unrolled: 1-line block ×6, first 2 shown]
	global_load_dwordx2 v[135:136], v[63:64], off offset:112
	global_load_dwordx2 v[137:138], v65, s[2:3]
	ds_read_b64 v[63:64], v82
	v_add_nc_u32_e32 v139, 0x800, v82
	s_waitcnt vmcnt(16) lgkmcnt(0)
	v_mul_f32_e32 v65, v64, v23
	v_mul_f32_e32 v66, v63, v23
	v_fma_f32 v65, v63, v22, -v65
	v_fmac_f32_e32 v66, v64, v22
	ds_write_b64 v82, v[65:66]
	ds_read2_b64 v[63:66], v82 offset0:18 offset1:36
	ds_read2_b64 v[67:70], v82 offset0:54 offset1:72
	;; [unrolled: 1-line block ×8, first 2 shown]
	s_waitcnt vmcnt(15) lgkmcnt(7)
	v_mul_f32_e32 v22, v64, v76
	v_mul_f32_e32 v23, v63, v76
	s_waitcnt vmcnt(14)
	v_mul_f32_e32 v140, v66, v110
	v_mul_f32_e32 v76, v65, v110
	s_waitcnt vmcnt(13) lgkmcnt(6)
	v_mul_f32_e32 v141, v68, v112
	v_mul_f32_e32 v110, v67, v112
	s_waitcnt vmcnt(12)
	v_mul_f32_e32 v142, v70, v114
	v_mul_f32_e32 v112, v69, v114
	;; [unrolled: 6-line block ×8, first 2 shown]
	v_fma_f32 v22, v63, v75, -v22
	v_fmac_f32_e32 v23, v64, v75
	v_fma_f32 v75, v65, v109, -v140
	v_fmac_f32_e32 v76, v66, v109
	v_fma_f32 v109, v67, v111, -v141
	v_fmac_f32_e32 v110, v68, v111
	v_fma_f32 v111, v69, v113, -v142
	v_fmac_f32_e32 v112, v70, v113
	v_fma_f32 v113, v71, v115, -v143
	v_fmac_f32_e32 v114, v72, v115
	v_fma_f32 v115, v73, v117, -v144
	v_fmac_f32_e32 v116, v74, v117
	v_fma_f32 v117, v89, v119, -v145
	v_fmac_f32_e32 v118, v90, v119
	v_fma_f32 v119, v91, v121, -v146
	v_fmac_f32_e32 v120, v92, v121
	v_fma_f32 v121, v93, v123, -v147
	v_fmac_f32_e32 v122, v94, v123
	v_fma_f32 v123, v95, v125, -v148
	v_fmac_f32_e32 v124, v96, v125
	v_fma_f32 v125, v97, v127, -v149
	v_fmac_f32_e32 v126, v98, v127
	v_fma_f32 v127, v99, v129, -v150
	v_fmac_f32_e32 v128, v100, v129
	v_fma_f32 v129, v101, v131, -v151
	v_fmac_f32_e32 v130, v102, v131
	v_fma_f32 v131, v103, v133, -v152
	v_fmac_f32_e32 v132, v104, v133
	v_fma_f32 v133, v105, v135, -v153
	v_fmac_f32_e32 v134, v106, v135
	v_fma_f32 v135, v107, v137, -v154
	v_fmac_f32_e32 v136, v108, v137
	ds_write2_b64 v82, v[22:23], v[75:76] offset0:18 offset1:36
	ds_write2_b64 v82, v[109:110], v[111:112] offset0:54 offset1:72
	;; [unrolled: 1-line block ×8, first 2 shown]
.LBB0_13:
	s_or_b32 exec_lo, exec_lo, s8
	s_waitcnt lgkmcnt(0)
	s_barrier
	buffer_gl0_inv
	s_and_saveexec_b32 s1, vcc_lo
	s_cbranch_execz .LBB0_15
; %bb.14:
	ds_read2_b64 v[20:23], v82 offset0:162 offset1:180
	ds_read2_b64 v[41:44], v82 offset0:198 offset1:216
	v_add_nc_u32_e32 v0, 0x800, v82
	ds_read2_b64 v[63:66], v82 offset0:234 offset1:252
	ds_read2_b64 v[0:3], v0 offset0:14 offset1:32
	ds_read_b64 v[61:62], v82
	ds_read2_b64 v[36:39], v82 offset0:18 offset1:36
	ds_read2_b64 v[24:27], v82 offset0:54 offset1:72
	;; [unrolled: 1-line block ×4, first 2 shown]
	s_waitcnt lgkmcnt(8)
	v_mov_b32_e32 v49, v22
	v_mov_b32_e32 v50, v23
	s_waitcnt lgkmcnt(7)
	v_mov_b32_e32 v47, v41
	v_mov_b32_e32 v48, v42
	;; [unrolled: 1-line block ×4, first 2 shown]
	s_waitcnt lgkmcnt(6)
	v_mov_b32_e32 v43, v63
	v_mov_b32_e32 v44, v64
	;; [unrolled: 1-line block ×4, first 2 shown]
.LBB0_15:
	s_or_b32 exec_lo, exec_lo, s1
	s_waitcnt lgkmcnt(3)
	v_sub_f32_e32 v75, v37, v3
	v_add_f32_e32 v76, v3, v37
	v_add_f32_e32 v89, v2, v36
	v_sub_f32_e32 v92, v36, v2
	v_sub_f32_e32 v105, v39, v1
	v_mul_f32_e32 v22, 0xbe3c28d5, v75
	v_mul_f32_e32 v23, 0xbf7ba420, v76
	v_add_f32_e32 v112, v1, v39
	v_add_f32_e32 v90, v0, v38
	v_sub_f32_e32 v91, v38, v0
	v_fmamk_f32 v63, v89, 0xbf7ba420, v22
	v_mul_f32_e32 v64, 0x3eb8f4ab, v105
	v_fmamk_f32 v65, v92, 0x3e3c28d5, v23
	v_mul_f32_e32 v66, 0x3f6eb680, v112
	v_fma_f32 v22, 0xbf7ba420, v89, -v22
	v_add_f32_e32 v63, v61, v63
	v_fmac_f32_e32 v23, 0xbe3c28d5, v92
	v_add_f32_e32 v65, v62, v65
	v_fmamk_f32 v67, v90, 0x3f6eb680, v64
	v_fmamk_f32 v68, v91, 0xbeb8f4ab, v66
	s_waitcnt lgkmcnt(2)
	v_sub_f32_e32 v106, v25, v42
	v_add_f32_e32 v125, v42, v25
	v_add_f32_e32 v22, v61, v22
	;; [unrolled: 1-line block ×6, first 2 shown]
	v_mul_f32_e32 v67, 0xbf06c442, v106
	v_fma_f32 v64, 0x3f6eb680, v90, -v64
	v_fmac_f32_e32 v66, 0x3eb8f4ab, v91
	v_sub_f32_e32 v94, v24, v41
	v_mul_f32_e32 v68, 0xbf59a7d5, v125
	v_sub_f32_e32 v107, v27, v44
	v_fmamk_f32 v69, v93, 0xbf59a7d5, v67
	v_add_f32_e32 v22, v64, v22
	v_add_f32_e32 v23, v66, v23
	v_fmamk_f32 v64, v94, 0x3f06c442, v68
	v_add_f32_e32 v95, v43, v26
	v_mul_f32_e32 v66, 0x3f2c7751, v107
	v_fma_f32 v67, 0xbf59a7d5, v93, -v67
	v_add_f32_e32 v132, v44, v27
	v_add_f32_e32 v63, v69, v63
	;; [unrolled: 1-line block ×3, first 2 shown]
	v_fmac_f32_e32 v68, 0xbf06c442, v94
	v_fmamk_f32 v65, v95, 0x3f3d2fb0, v66
	v_add_f32_e32 v22, v67, v22
	v_sub_f32_e32 v96, v26, v43
	v_mul_f32_e32 v67, 0x3f3d2fb0, v132
	s_waitcnt lgkmcnt(1)
	v_sub_f32_e32 v108, v33, v46
	v_add_f32_e32 v23, v68, v23
	v_add_f32_e32 v63, v65, v63
	;; [unrolled: 1-line block ×3, first 2 shown]
	v_fmamk_f32 v65, v96, 0xbf2c7751, v67
	v_mul_f32_e32 v68, 0xbf4c4adb, v108
	v_add_f32_e32 v140, v46, v33
	v_sub_f32_e32 v109, v35, v48
	v_sub_f32_e32 v98, v32, v45
	v_add_f32_e32 v64, v65, v64
	v_fmamk_f32 v65, v97, 0xbf1a4643, v68
	v_mul_f32_e32 v69, 0xbf1a4643, v140
	v_fma_f32 v66, 0x3f3d2fb0, v95, -v66
	v_fmac_f32_e32 v67, 0x3f2c7751, v96
	v_add_f32_e32 v99, v47, v34
	v_add_f32_e32 v63, v65, v63
	v_mul_f32_e32 v65, 0x3f65296c, v109
	v_add_f32_e32 v175, v48, v35
	v_fmamk_f32 v70, v98, 0x3f4c4adb, v69
	v_add_f32_e32 v22, v66, v22
	v_add_f32_e32 v23, v67, v23
	v_fma_f32 v66, 0xbf1a4643, v97, -v68
	v_fmac_f32_e32 v69, 0xbf4c4adb, v98
	v_sub_f32_e32 v100, v34, v47
	v_fmamk_f32 v67, v99, 0x3ee437d1, v65
	v_mul_f32_e32 v68, 0x3ee437d1, v175
	s_waitcnt lgkmcnt(0)
	v_sub_f32_e32 v114, v29, v50
	v_add_f32_e32 v133, v50, v29
	v_add_f32_e32 v64, v70, v64
	;; [unrolled: 1-line block ×5, first 2 shown]
	v_fmamk_f32 v66, v100, 0xbf65296c, v68
	v_add_f32_e32 v101, v49, v28
	v_mul_f32_e32 v67, 0xbf763a35, v114
	v_fma_f32 v65, 0x3ee437d1, v99, -v65
	v_fmac_f32_e32 v68, 0x3f65296c, v100
	v_sub_f32_e32 v102, v28, v49
	v_mul_f32_e32 v70, 0xbe8c1d8e, v133
	v_sub_f32_e32 v127, v31, v21
	v_add_f32_e32 v136, v21, v31
	v_fmamk_f32 v69, v101, 0xbe8c1d8e, v67
	v_add_f32_e32 v64, v66, v64
	v_add_f32_e32 v22, v65, v22
	;; [unrolled: 1-line block ×3, first 2 shown]
	v_fmamk_f32 v65, v102, 0x3f763a35, v70
	v_fma_f32 v66, 0xbe8c1d8e, v101, -v67
	v_fmac_f32_e32 v70, 0xbf763a35, v102
	v_add_f32_e32 v103, v20, v30
	v_sub_f32_e32 v104, v30, v20
	v_mul_f32_e32 v67, 0x3f7ee86f, v127
	v_mul_f32_e32 v68, 0x3dbcf732, v136
	v_add_f32_e32 v63, v69, v63
	v_add_f32_e32 v64, v65, v64
	;; [unrolled: 1-line block ×4, first 2 shown]
	v_fmamk_f32 v65, v103, 0x3dbcf732, v67
	v_fmamk_f32 v66, v104, 0xbf7ee86f, v68
	v_fma_f32 v67, 0x3dbcf732, v103, -v67
	v_fmac_f32_e32 v68, 0x3f7ee86f, v104
	v_add_f32_e32 v63, v65, v63
	v_add_f32_e32 v64, v66, v64
	v_add_f32_e32 v65, v67, v22
	v_add_f32_e32 v66, v68, v23
	s_barrier
	buffer_gl0_inv
	s_and_saveexec_b32 s1, vcc_lo
	s_cbranch_execz .LBB0_17
; %bb.16:
	v_mul_f32_e32 v134, 0xbf59a7d5, v76
	v_mul_f32_e32 v124, 0x3ee437d1, v112
	;; [unrolled: 1-line block ×5, first 2 shown]
	v_fmamk_f32 v22, v92, 0x3f06c442, v134
	v_fmamk_f32 v23, v91, 0xbf65296c, v124
	;; [unrolled: 1-line block ×3, first 2 shown]
	v_mul_f32_e32 v120, 0x3f6eb680, v140
	v_mul_f32_e32 v135, 0x3f65296c, v105
	v_add_f32_e32 v22, v62, v22
	v_mul_f32_e32 v115, 0xbf7ba420, v175
	v_mul_f32_e32 v131, 0xbf7ee86f, v106
	;; [unrolled: 1-line block ×3, first 2 shown]
	v_fmamk_f32 v68, v98, 0x3eb8f4ab, v120
	v_add_f32_e32 v22, v23, v22
	v_fmamk_f32 v23, v96, 0xbf4c4adb, v121
	v_fmamk_f32 v69, v90, 0x3ee437d1, v135
	v_mul_f32_e32 v113, 0x3f3d2fb0, v133
	v_mul_f32_e32 v130, 0x3f4c4adb, v107
	v_add_f32_e32 v22, v67, v22
	v_fmamk_f32 v67, v89, 0xbf59a7d5, v137
	v_mul_f32_e32 v116, 0xbe8c1d8e, v112
	v_fmamk_f32 v70, v93, 0x3dbcf732, v131
	v_fmamk_f32 v71, v92, 0x3f4c4adb, v128
	v_add_f32_e32 v22, v23, v22
	v_add_f32_e32 v23, v61, v67
	v_fmamk_f32 v67, v100, 0x3e3c28d5, v115
	v_mul_f32_e32 v129, 0xbeb8f4ab, v108
	v_mul_f32_e32 v111, 0x3f6eb680, v125
	v_add_f32_e32 v22, v68, v22
	v_add_f32_e32 v23, v69, v23
	v_fmamk_f32 v68, v102, 0xbf2c7751, v113
	v_fmamk_f32 v69, v95, 0xbf1a4643, v130
	v_add_f32_e32 v71, v62, v71
	v_add_f32_e32 v22, v67, v22
	;; [unrolled: 1-line block ×3, first 2 shown]
	v_fmamk_f32 v70, v91, 0xbf763a35, v116
	v_mul_f32_e32 v110, 0xbe8c1d8e, v136
	v_mul_f32_e32 v166, 0xbe3c28d5, v109
	v_add_f32_e32 v22, v68, v22
	v_add_f32_e32 v23, v69, v23
	v_fmamk_f32 v68, v97, 0x3f6eb680, v129
	v_add_f32_e32 v69, v70, v71
	v_fmamk_f32 v70, v94, 0x3eb8f4ab, v111
	v_mul_f32_e32 v117, 0xbf59a7d5, v132
	v_fmamk_f32 v67, v104, 0x3f763a35, v110
	v_add_f32_e32 v23, v68, v23
	v_fmamk_f32 v68, v99, 0xbf7ba420, v166
	v_mul_f32_e32 v149, 0x3f2c7751, v114
	v_add_f32_e32 v69, v70, v69
	v_fmamk_f32 v70, v96, 0x3f06c442, v117
	v_mul_f32_e32 v118, 0x3dbcf732, v140
	v_add_f32_e32 v68, v68, v23
	v_fmamk_f32 v71, v101, 0x3f3d2fb0, v149
	v_add_f32_e32 v23, v67, v22
	v_add_f32_e32 v22, v70, v69
	v_fmamk_f32 v67, v98, 0xbf7ee86f, v118
	v_mul_f32_e32 v119, 0x3f3d2fb0, v175
	v_mul_f32_e32 v139, 0xbf763a35, v127
	v_mul_f32_e32 v143, 0xbf4c4adb, v75
	v_add_f32_e32 v68, v71, v68
	v_add_f32_e32 v22, v67, v22
	v_fmamk_f32 v67, v100, 0x3f2c7751, v119
	v_mul_f32_e32 v123, 0xbf7ba420, v133
	v_fmamk_f32 v69, v103, 0xbe8c1d8e, v139
	v_fmamk_f32 v70, v89, 0xbf1a4643, v143
	v_mul_f32_e32 v147, 0x3f763a35, v105
	v_add_f32_e32 v67, v67, v22
	v_fmamk_f32 v71, v102, 0x3e3c28d5, v123
	v_add_f32_e32 v22, v69, v68
	v_add_f32_e32 v68, v61, v70
	v_fmamk_f32 v69, v90, 0xbe8c1d8e, v147
	v_mul_f32_e32 v138, 0xbeb8f4ab, v106
	v_mul_f32_e32 v167, 0xbe8c1d8e, v76
	v_add_f32_e32 v67, v71, v67
	v_mul_f32_e32 v159, 0xbf06c442, v107
	v_add_f32_e32 v68, v69, v68
	v_fmamk_f32 v69, v93, 0x3f6eb680, v138
	v_fmamk_f32 v71, v92, 0x3f763a35, v167
	v_mul_f32_e32 v168, 0xbf59a7d5, v112
	v_mul_f32_e32 v160, 0x3f7ee86f, v108
	v_mul_f32_e32 v169, 0x3f3d2fb0, v125
	v_add_f32_e32 v68, v69, v68
	v_fmamk_f32 v69, v95, 0xbf59a7d5, v159
	v_add_f32_e32 v71, v62, v71
	v_fmamk_f32 v72, v91, 0xbf06c442, v168
	v_mul_f32_e32 v126, 0x3ee437d1, v136
	v_mul_f32_e32 v161, 0xbf2c7751, v109
	v_add_f32_e32 v68, v69, v68
	v_fmamk_f32 v69, v97, 0x3dbcf732, v160
	v_add_f32_e32 v71, v72, v71
	v_fmamk_f32 v72, v94, 0xbf2c7751, v169
	v_mul_f32_e32 v170, 0x3ee437d1, v132
	v_fmamk_f32 v70, v104, 0xbf65296c, v126
	v_add_f32_e32 v68, v69, v68
	v_fmamk_f32 v69, v99, 0x3f3d2fb0, v161
	v_mul_f32_e32 v162, 0xbe3c28d5, v114
	v_add_f32_e32 v71, v72, v71
	v_fmamk_f32 v72, v96, 0x3f65296c, v170
	v_mul_f32_e32 v171, 0xbf7ba420, v140
	v_add_f32_e32 v69, v69, v68
	v_fmamk_f32 v73, v101, 0xbf7ba420, v162
	v_add_f32_e32 v68, v70, v67
	v_add_f32_e32 v67, v72, v71
	v_fmamk_f32 v70, v98, 0x3e3c28d5, v171
	v_mul_f32_e32 v145, 0x3dbcf732, v175
	v_mul_f32_e32 v153, 0x3f65296c, v127
	v_mul_f32_e32 v176, 0xbf763a35, v75
	v_add_f32_e32 v69, v73, v69
	v_add_f32_e32 v67, v70, v67
	v_fmamk_f32 v70, v100, 0xbf7ee86f, v145
	v_mul_f32_e32 v141, 0x3f6eb680, v133
	v_fmamk_f32 v71, v103, 0x3ee437d1, v153
	v_fmamk_f32 v72, v89, 0xbe8c1d8e, v176
	v_mul_f32_e32 v178, 0x3f06c442, v105
	v_add_f32_e32 v70, v70, v67
	v_fmamk_f32 v73, v102, 0x3eb8f4ab, v141
	v_add_f32_e32 v67, v71, v69
	v_add_f32_e32 v69, v61, v72
	v_fmamk_f32 v71, v90, 0xbf59a7d5, v178
	v_mul_f32_e32 v150, 0x3f2c7751, v106
	v_mul_f32_e32 v182, 0x3dbcf732, v76
	v_add_f32_e32 v70, v73, v70
	v_mul_f32_e32 v142, 0xbf65296c, v107
	v_add_f32_e32 v69, v71, v69
	v_fmamk_f32 v71, v93, 0x3f3d2fb0, v150
	v_fmamk_f32 v73, v92, 0x3f7ee86f, v182
	v_mul_f32_e32 v152, 0xbf7ba420, v112
	v_mul_f32_e32 v144, 0xbe3c28d5, v108
	v_mul_f32_e32 v154, 0xbe8c1d8e, v125
	v_add_f32_e32 v69, v71, v69
	v_fmamk_f32 v71, v95, 0x3ee437d1, v142
	v_add_f32_e32 v73, v62, v73
	v_fmamk_f32 v74, v91, 0x3e3c28d5, v152
	v_mul_f32_e32 v146, 0xbf1a4643, v136
	v_mul_f32_e32 v148, 0x3f7ee86f, v109
	;; [unrolled: 48-line block ×3, first 2 shown]
	v_add_f32_e32 v72, v73, v72
	v_fmamk_f32 v73, v97, 0x3ee437d1, v206
	v_add_f32_e32 v157, v157, v156
	v_fmamk_f32 v158, v94, 0xbe3c28d5, v155
	v_mul_f32_e32 v156, 0xbe8c1d8e, v132
	v_fmamk_f32 v74, v104, 0xbf2c7751, v177
	v_add_f32_e32 v72, v73, v72
	v_fmamk_f32 v73, v99, 0xbf59a7d5, v207
	v_mul_f32_e32 v200, 0x3f4c4adb, v114
	v_add_f32_e32 v158, v158, v157
	v_fmamk_f32 v174, v96, 0xbf763a35, v156
	v_mul_f32_e32 v157, 0x3f3d2fb0, v140
	v_add_f32_e32 v73, v73, v72
	v_fmamk_f32 v180, v101, 0xbf1a4643, v200
	v_add_f32_e32 v72, v74, v71
	v_add_f32_e32 v71, v174, v158
	v_fmamk_f32 v74, v98, 0xbf2c7751, v157
	v_mul_f32_e32 v158, 0x3f6eb680, v175
	v_mul_f32_e32 v189, 0x3f2c7751, v127
	;; [unrolled: 1-line block ×3, first 2 shown]
	v_add_f32_e32 v73, v180, v73
	v_add_f32_e32 v71, v74, v71
	v_fmamk_f32 v74, v100, 0x3eb8f4ab, v158
	v_fmamk_f32 v180, v103, 0x3f3d2fb0, v189
	;; [unrolled: 1-line block ×3, first 2 shown]
	v_mul_f32_e32 v198, 0xbf4c4adb, v105
	v_mul_f32_e32 v188, 0x3e3c28d5, v106
	v_add_f32_e32 v74, v74, v71
	v_add_f32_e32 v71, v180, v73
	;; [unrolled: 1-line block ×3, first 2 shown]
	v_fmamk_f32 v181, v90, 0xbf1a4643, v198
	v_mul_f32_e32 v208, 0x3f3d2fb0, v76
	v_mul_f32_e32 v201, 0x3f763a35, v107
	v_mul_f32_e32 v209, 0x3dbcf732, v112
	v_mul_f32_e32 v174, 0x3dbcf732, v133
	v_add_f32_e32 v73, v181, v73
	v_fmamk_f32 v181, v93, 0xbf7ba420, v188
	v_fmamk_f32 v190, v92, 0x3f2c7751, v208
	v_mul_f32_e32 v202, 0x3f2c7751, v108
	v_fmamk_f32 v191, v91, 0x3f7ee86f, v209
	v_mul_f32_e32 v210, 0xbf1a4643, v125
	v_add_f32_e32 v73, v181, v73
	v_fmamk_f32 v181, v95, 0xbe8c1d8e, v201
	v_add_f32_e32 v190, v62, v190
	v_fmamk_f32 v184, v102, 0x3f7ee86f, v174
	v_mul_f32_e32 v180, 0xbf59a7d5, v136
	v_mul_f32_e32 v203, 0xbeb8f4ab, v109
	v_add_f32_e32 v73, v181, v73
	v_fmamk_f32 v181, v97, 0x3f3d2fb0, v202
	v_add_f32_e32 v190, v191, v190
	v_fmamk_f32 v191, v94, 0x3f4c4adb, v210
	v_mul_f32_e32 v211, 0xbf7ba420, v132
	v_add_f32_e32 v74, v184, v74
	v_fmamk_f32 v184, v104, 0x3f06c442, v180
	v_add_f32_e32 v73, v181, v73
	v_fmamk_f32 v181, v99, 0x3f6eb680, v203
	v_mul_f32_e32 v204, 0xbf7ee86f, v114
	v_add_f32_e32 v190, v191, v190
	v_fmamk_f32 v191, v96, 0x3e3c28d5, v211
	v_mul_f32_e32 v212, 0xbf59a7d5, v140
	v_add_f32_e32 v73, v181, v73
	v_fmamk_f32 v181, v101, 0x3dbcf732, v204
	v_add_f32_e32 v74, v184, v74
	v_add_f32_e32 v184, v191, v190
	v_fmamk_f32 v190, v98, 0xbf06c442, v212
	v_mul_f32_e32 v196, 0xbe8c1d8e, v175
	v_add_f32_e32 v73, v181, v73
	v_mul_f32_e32 v214, 0xbf2c7751, v75
	v_mul_f32_e32 v215, 0xbf7ee86f, v105
	v_add_f32_e32 v181, v190, v184
	v_fmamk_f32 v184, v100, 0xbf763a35, v196
	v_mul_f32_e32 v190, 0x3ee437d1, v133
	v_fmamk_f32 v191, v89, 0x3f3d2fb0, v214
	v_mul_f32_e32 v213, 0xbf06c442, v127
	v_fmamk_f32 v194, v90, 0x3dbcf732, v215
	v_add_f32_e32 v181, v184, v181
	v_fmamk_f32 v193, v102, 0xbf65296c, v190
	v_add_f32_e32 v191, v61, v191
	v_fmamk_f32 v192, v103, 0xbf59a7d5, v213
	v_mul_f32_e32 v184, 0xbf4c4adb, v106
	v_mul_f32_e32 v140, 0xbe8c1d8e, v140
	v_add_f32_e32 v216, v193, v181
	v_mul_f32_e32 v193, 0x3f6eb680, v76
	v_add_f32_e32 v76, v194, v191
	;; [unrolled: 2-line block ×3, first 2 shown]
	v_fmamk_f32 v192, v93, 0xbf1a4643, v184
	v_fmamk_f32 v197, v92, 0x3eb8f4ab, v193
	v_mul_f32_e32 v191, 0xbe3c28d5, v107
	v_fmamk_f32 v217, v91, 0x3f2c7751, v194
	v_mul_f32_e32 v181, 0x3f6eb680, v136
	v_add_f32_e32 v76, v192, v76
	v_add_f32_e32 v199, v62, v197
	v_mul_f32_e32 v197, 0x3ee437d1, v125
	v_fmamk_f32 v112, v95, 0xbf7ba420, v191
	v_mul_f32_e32 v192, 0x3f06c442, v108
	v_mul_f32_e32 v125, 0x3f763a35, v109
	v_add_f32_e32 v217, v217, v199
	v_fmamk_f32 v218, v94, 0x3f65296c, v197
	v_mul_f32_e32 v199, 0x3dbcf732, v132
	v_add_f32_e32 v76, v112, v76
	v_fmamk_f32 v112, v97, 0xbf59a7d5, v192
	;; [unrolled: 3-line block ×4, first 2 shown]
	v_add_f32_e32 v37, v37, v62
	v_add_f32_e32 v217, v218, v217
	v_fmamk_f32 v218, v98, 0x3f763a35, v140
	v_fmamk_f32 v219, v101, 0x3ee437d1, v132
	v_add_f32_e32 v76, v112, v76
	v_fmamk_f32 v220, v104, 0xbeb8f4ab, v181
	v_mul_f32_e32 v222, 0xbeb8f4ab, v75
	v_add_f32_e32 v217, v218, v217
	v_fmamk_f32 v218, v100, 0x3f4c4adb, v175
	v_add_f32_e32 v37, v39, v37
	v_add_f32_e32 v36, v36, v61
	;; [unrolled: 1-line block ×5, first 2 shown]
	v_fmamk_f32 v217, v89, 0x3f6eb680, v222
	v_mul_f32_e32 v105, 0xbf2c7751, v105
	v_add_f32_e32 v25, v25, v37
	v_add_f32_e32 v36, v38, v36
	v_mul_f32_e32 v39, 0xbf59a7d5, v133
	v_add_f32_e32 v133, v61, v217
	v_fmamk_f32 v217, v90, 0x3f3d2fb0, v105
	v_mul_f32_e32 v37, 0xbf65296c, v106
	v_add_f32_e32 v25, v27, v25
	v_add_f32_e32 v24, v24, v36
	v_mul_f32_e32 v36, 0xbf7ee86f, v107
	v_add_f32_e32 v106, v217, v133
	v_fmamk_f32 v27, v93, 0x3ee437d1, v37
	v_add_f32_e32 v25, v33, v25
	v_add_f32_e32 v24, v26, v24
	v_mul_f32_e32 v33, 0xbf763a35, v108
	v_fmamk_f32 v38, v102, 0x3f06c442, v39
	v_add_f32_e32 v26, v27, v106
	v_fmamk_f32 v27, v95, 0x3dbcf732, v36
	v_add_f32_e32 v25, v35, v25
	v_add_f32_e32 v24, v32, v24
	v_mul_f32_e32 v35, 0xbf7ba420, v136
	v_mul_f32_e32 v32, 0xbf4c4adb, v109
	v_add_f32_e32 v26, v27, v26
	v_fmamk_f32 v27, v97, 0xbe8c1d8e, v33
	v_add_f32_e32 v25, v29, v25
	v_add_f32_e32 v24, v34, v24
	;; [unrolled: 1-line block ×3, first 2 shown]
	v_fmamk_f32 v29, v104, 0x3e3c28d5, v35
	v_add_f32_e32 v26, v27, v26
	v_add_f32_e32 v27, v31, v25
	v_add_f32_e32 v24, v28, v24
	v_fmamk_f32 v28, v99, 0xbf1a4643, v32
	v_mul_f32_e32 v34, 0xbf06c442, v114
	v_add_f32_e32 v25, v29, v38
	v_add_f32_e32 v21, v21, v27
	;; [unrolled: 1-line block ×4, first 2 shown]
	v_fmamk_f32 v27, v101, 0xbf59a7d5, v34
	v_mul_f32_e32 v38, 0xbe3c28d5, v127
	v_add_f32_e32 v21, v50, v21
	v_add_f32_e32 v20, v20, v24
	v_fmac_f32_e32 v134, 0xbf06c442, v92
	v_add_f32_e32 v24, v27, v26
	v_fmamk_f32 v26, v103, 0xbf7ba420, v38
	v_add_f32_e32 v21, v48, v21
	v_add_f32_e32 v20, v49, v20
	v_add_f32_e32 v27, v62, v134
	v_fmac_f32_e32 v124, 0x3f65296c, v91
	v_add_f32_e32 v24, v26, v24
	v_fma_f32 v26, 0xbf59a7d5, v89, -v137
	v_add_f32_e32 v21, v46, v21
	v_add_f32_e32 v20, v47, v20
	v_add_f32_e32 v27, v124, v27
	v_fmac_f32_e32 v122, 0xbf7ee86f, v94
	v_add_f32_e32 v26, v61, v26
	v_fma_f32 v28, 0x3ee437d1, v90, -v135
	;; [unrolled: 6-line block ×6, first 2 shown]
	v_fmac_f32_e32 v128, 0xbf4c4adb, v92
	v_add_f32_e32 v0, v2, v0
	v_add_f32_e32 v2, v113, v3
	v_fmac_f32_e32 v110, 0xbf763a35, v104
	v_add_f32_e32 v20, v21, v20
	v_fma_f32 v21, 0x3f3d2fb0, v101, -v149
	v_add_f32_e32 v26, v62, v128
	v_fmac_f32_e32 v116, 0x3f763a35, v91
	v_add_f32_e32 v3, v110, v2
	v_fma_f32 v2, 0xbf1a4643, v89, -v143
	v_add_f32_e32 v20, v21, v20
	v_fma_f32 v21, 0xbe8c1d8e, v103, -v139
	v_add_f32_e32 v26, v116, v26
	v_fmac_f32_e32 v111, 0xbeb8f4ab, v94
	v_add_f32_e32 v27, v61, v2
	v_fma_f32 v28, 0xbe8c1d8e, v90, -v147
	v_add_f32_e32 v2, v21, v20
	v_fmac_f32_e32 v167, 0xbf763a35, v92
	v_add_f32_e32 v20, v111, v26
	v_fmac_f32_e32 v117, 0xbf06c442, v96
	v_add_f32_e32 v21, v28, v27
	v_fma_f32 v26, 0x3f6eb680, v93, -v138
	v_add_f32_e32 v27, v62, v167
	v_fmac_f32_e32 v168, 0x3f06c442, v91
	;; [unrolled: 6-line block ×6, first 2 shown]
	v_add_f32_e32 v21, v126, v20
	v_fma_f32 v20, 0xbe8c1d8e, v89, -v176
	v_add_f32_e32 v26, v28, v26
	v_fma_f32 v28, 0x3ee437d1, v103, -v153
	v_add_f32_e32 v27, v145, v27
	v_fmac_f32_e32 v141, 0xbeb8f4ab, v102
	v_add_f32_e32 v29, v61, v20
	v_fma_f32 v30, 0xbf59a7d5, v90, -v178
	v_fmac_f32_e32 v182, 0xbf7ee86f, v92
	v_add_f32_e32 v20, v28, v26
	v_add_f32_e32 v26, v141, v27
	v_fmac_f32_e32 v146, 0xbf4c4adb, v104
	v_add_f32_e32 v28, v30, v29
	v_fma_f32 v29, 0x3f3d2fb0, v93, -v150
	v_add_f32_e32 v30, v62, v182
	v_fmac_f32_e32 v152, 0xbe3c28d5, v91
	v_add_f32_e32 v27, v146, v26
	v_fma_f32 v26, 0x3dbcf732, v89, -v185
	v_add_f32_e32 v28, v29, v28
	v_fma_f32 v29, 0x3ee437d1, v95, -v142
	v_add_f32_e32 v30, v152, v30
	v_fmac_f32_e32 v154, 0x3f763a35, v94
	v_add_f32_e32 v26, v61, v26
	v_fma_f32 v31, 0xbf7ba420, v90, -v186
	;; [unrolled: 6-line block ×6, first 2 shown]
	v_add_f32_e32 v26, v29, v28
	v_fmac_f32_e32 v183, 0xbf65296c, v92
	v_add_f32_e32 v28, v172, v30
	v_fmac_f32_e32 v177, 0x3f2c7751, v104
	v_add_f32_e32 v30, v41, v31
	v_fma_f32 v31, 0xbf1a4643, v101, -v200
	v_add_f32_e32 v41, v62, v183
	v_fmac_f32_e32 v179, 0xbf4c4adb, v91
	v_add_f32_e32 v29, v177, v28
	v_fma_f32 v28, 0x3ee437d1, v89, -v195
	v_add_f32_e32 v30, v31, v30
	v_fma_f32 v31, 0x3f3d2fb0, v103, -v189
	v_add_f32_e32 v41, v179, v41
	v_fmac_f32_e32 v155, 0x3e3c28d5, v94
	v_add_f32_e32 v42, v61, v28
	v_fma_f32 v43, 0xbf1a4643, v90, -v198
	v_fmac_f32_e32 v208, 0xbf2c7751, v92
	v_add_f32_e32 v28, v31, v30
	v_add_f32_e32 v30, v155, v41
	v_fmac_f32_e32 v156, 0x3f763a35, v96
	v_add_f32_e32 v31, v43, v42
	v_fma_f32 v41, 0xbf7ba420, v93, -v188
	v_add_f32_e32 v42, v62, v208
	v_fmac_f32_e32 v209, 0xbf7ee86f, v91
	v_add_f32_e32 v30, v156, v30
	v_fmac_f32_e32 v157, 0x3f2c7751, v98
	v_add_f32_e32 v31, v41, v31
	v_fma_f32 v41, 0xbe8c1d8e, v95, -v201
	v_add_f32_e32 v42, v209, v42
	v_fmac_f32_e32 v210, 0xbf4c4adb, v94
	;; [unrolled: 6-line block ×5, first 2 shown]
	v_add_f32_e32 v31, v180, v30
	v_fma_f32 v30, 0x3f3d2fb0, v89, -v214
	v_add_f32_e32 v41, v43, v41
	v_fma_f32 v43, 0xbf59a7d5, v103, -v213
	v_add_f32_e32 v42, v196, v42
	v_fmac_f32_e32 v190, 0x3f65296c, v102
	v_add_f32_e32 v44, v61, v30
	v_fma_f32 v45, 0x3dbcf732, v90, -v215
	v_add_f32_e32 v30, v43, v41
	v_fmac_f32_e32 v193, 0xbeb8f4ab, v92
	v_add_f32_e32 v41, v190, v42
	v_fma_f32 v42, 0x3f6eb680, v89, -v222
	v_add_f32_e32 v43, v45, v44
	v_fma_f32 v44, 0xbf1a4643, v93, -v184
	v_add_f32_e32 v45, v62, v193
	v_fmac_f32_e32 v194, 0xbf2c7751, v91
	v_add_f32_e32 v42, v61, v42
	v_fma_f32 v46, 0x3f3d2fb0, v90, -v105
	;; [unrolled: 6-line block ×6, first 2 shown]
	v_mul_f32_e32 v112, 0x3eb8f4ab, v127
	v_add_f32_e32 v36, v42, v37
	v_add_f32_e32 v37, v175, v43
	v_fmac_f32_e32 v39, 0xbf06c442, v102
	v_add_f32_e32 v32, v32, v33
	v_fma_f32 v33, 0xbf59a7d5, v101, -v34
	v_and_b32_e32 v42, 0xffff, v81
	v_fmamk_f32 v221, v103, 0x3f6eb680, v112
	v_fmac_f32_e32 v181, 0x3eb8f4ab, v104
	v_fma_f32 v34, 0x3f6eb680, v103, -v112
	v_add_f32_e32 v37, v39, v37
	v_fmac_f32_e32 v35, 0xbe3c28d5, v104
	v_add_f32_e32 v39, v33, v32
	v_fma_f32 v38, 0xbf7ba420, v103, -v38
	v_lshl_add_u32 v42, v42, 3, v80
	v_add_f32_e32 v75, v221, v219
	v_add_f32_e32 v33, v181, v41
	;; [unrolled: 1-line block ×5, first 2 shown]
	ds_write2_b64 v42, v[0:1], v[24:25] offset1:1
	ds_write2_b64 v42, v[75:76], v[73:74] offset0:2 offset1:3
	ds_write2_b64 v42, v[71:72], v[69:70] offset0:4 offset1:5
	;; [unrolled: 1-line block ×7, first 2 shown]
	ds_write_b64 v42, v[34:35] offset:128
.LBB0_17:
	s_or_b32 exec_lo, exec_lo, s1
	s_waitcnt lgkmcnt(0)
	s_barrier
	buffer_gl0_inv
	ds_read2_b64 v[0:3], v83 offset1:34
	ds_read2_b64 v[28:31], v83 offset0:153 offset1:187
	ds_read2_b64 v[20:23], v83 offset0:68 offset1:102
	;; [unrolled: 1-line block ×3, first 2 shown]
	s_and_saveexec_b32 s1, s0
	s_cbranch_execz .LBB0_19
; %bb.18:
	ds_read_b64 v[63:64], v83 offset:1088
	ds_read_b64 v[65:66], v83 offset:2312
.LBB0_19:
	s_or_b32 exec_lo, exec_lo, s1
	s_waitcnt lgkmcnt(2)
	v_mul_f32_e32 v32, v56, v29
	v_mul_f32_e32 v33, v56, v28
	;; [unrolled: 1-line block ×4, first 2 shown]
	s_waitcnt lgkmcnt(0)
	v_mul_f32_e32 v36, v58, v25
	v_fmac_f32_e32 v32, v55, v28
	v_fma_f32 v28, v55, v29, -v33
	v_mul_f32_e32 v29, v58, v24
	v_fmac_f32_e32 v34, v59, v30
	v_fma_f32 v30, v59, v31, -v35
	v_mul_f32_e32 v31, v54, v27
	v_mul_f32_e32 v33, v54, v26
	v_fmac_f32_e32 v36, v57, v24
	v_fma_f32 v29, v57, v25, -v29
	v_sub_f32_e32 v24, v0, v32
	v_fmac_f32_e32 v31, v53, v26
	v_fma_f32 v32, v53, v27, -v33
	v_sub_f32_e32 v25, v1, v28
	v_sub_f32_e32 v26, v2, v34
	;; [unrolled: 1-line block ×7, first 2 shown]
	v_fma_f32 v0, v0, 2.0, -v24
	v_fma_f32 v1, v1, 2.0, -v25
	;; [unrolled: 1-line block ×8, first 2 shown]
	s_barrier
	buffer_gl0_inv
	ds_write2_b64 v87, v[0:1], v[24:25] offset1:17
	ds_write2_b64 v88, v[2:3], v[26:27] offset1:17
	;; [unrolled: 1-line block ×4, first 2 shown]
	s_and_saveexec_b32 s1, s0
	s_cbranch_execz .LBB0_21
; %bb.20:
	v_mul_f32_e32 v0, v52, v65
	v_mul_f32_e32 v2, v52, v66
	v_lshl_add_u32 v20, v84, 3, v80
	v_fma_f32 v0, v51, v66, -v0
	v_fmac_f32_e32 v2, v51, v65
	v_add_nc_u32_e32 v20, 0x800, v20
	v_sub_f32_e32 v1, v64, v0
	v_sub_f32_e32 v0, v63, v2
	v_fma_f32 v3, v64, 2.0, -v1
	v_fma_f32 v2, v63, 2.0, -v0
	ds_write2_b64 v20, v[2:3], v[0:1] offset0:16 offset1:33
.LBB0_21:
	s_or_b32 exec_lo, exec_lo, s1
	s_waitcnt lgkmcnt(0)
	s_barrier
	buffer_gl0_inv
	ds_read2_b64 v[0:3], v83 offset1:34
	ds_read2_b64 v[20:23], v83 offset0:68 offset1:102
	ds_read2_b64 v[24:27], v83 offset0:136 offset1:170
	;; [unrolled: 1-line block ×3, first 2 shown]
	ds_read_b64 v[32:33], v83 offset:2176
	s_waitcnt lgkmcnt(4)
	v_mul_f32_e32 v34, v17, v3
	s_waitcnt lgkmcnt(3)
	v_mul_f32_e32 v36, v13, v23
	v_mul_f32_e32 v13, v13, v22
	s_waitcnt lgkmcnt(2)
	v_mul_f32_e32 v37, v15, v25
	v_mul_f32_e32 v15, v15, v24
	;; [unrolled: 1-line block ×5, first 2 shown]
	v_fmac_f32_e32 v36, v12, v22
	v_fma_f32 v12, v12, v23, -v13
	v_fmac_f32_e32 v37, v14, v24
	v_fma_f32 v13, v14, v25, -v15
	;; [unrolled: 2-line block ×3, first 2 shown]
	s_waitcnt lgkmcnt(0)
	v_mul_f32_e32 v8, v7, v33
	v_mul_f32_e32 v7, v7, v32
	;; [unrolled: 1-line block ×5, first 2 shown]
	v_fmac_f32_e32 v34, v16, v2
	v_fma_f32 v2, v16, v3, -v17
	v_mul_f32_e32 v9, v11, v28
	v_mul_f32_e32 v11, v5, v31
	v_mul_f32_e32 v5, v5, v30
	v_fmac_f32_e32 v8, v6, v32
	v_fma_f32 v6, v6, v33, -v7
	v_fmac_f32_e32 v35, v18, v20
	v_fma_f32 v3, v18, v21, -v19
	v_fmac_f32_e32 v39, v10, v28
	v_fmac_f32_e32 v11, v4, v30
	v_fma_f32 v4, v4, v31, -v5
	v_sub_f32_e32 v15, v34, v8
	v_add_f32_e32 v20, v2, v6
	v_sub_f32_e32 v27, v13, v14
	v_add_f32_e32 v28, v37, v38
	v_fma_f32 v7, v10, v29, -v9
	v_sub_f32_e32 v16, v2, v6
	v_add_f32_e32 v17, v34, v8
	v_sub_f32_e32 v18, v35, v11
	v_sub_f32_e32 v19, v3, v4
	v_mul_f32_e32 v8, 0x3f248dbb, v15
	v_add_f32_e32 v23, v35, v11
	v_add_f32_e32 v24, v3, v4
	v_fmamk_f32 v3, v20, 0x3f441b7d, v1
	v_mul_f32_e32 v11, 0xbf248dbb, v27
	v_fmamk_f32 v4, v28, 0x3f441b7d, v0
	v_sub_f32_e32 v21, v36, v39
	v_sub_f32_e32 v22, v12, v7
	v_fmac_f32_e32 v8, 0x3f7c1c5c, v18
	v_add_f32_e32 v25, v36, v39
	v_add_f32_e32 v12, v12, v7
	v_fmac_f32_e32 v3, 0x3e31d0d4, v24
	v_fmac_f32_e32 v11, 0x3f7c1c5c, v16
	;; [unrolled: 1-line block ×3, first 2 shown]
	v_sub_f32_e32 v26, v37, v38
	v_add_f32_e32 v29, v13, v14
	v_mul_f32_e32 v9, 0x3f248dbb, v16
	v_fmac_f32_e32 v8, 0x3f5db3d7, v21
	v_fmac_f32_e32 v3, -0.5, v12
	v_fmac_f32_e32 v11, 0xbf5db3d7, v22
	v_fmac_f32_e32 v4, -0.5, v25
	v_fmamk_f32 v2, v17, 0x3f441b7d, v0
	v_mul_f32_e32 v10, 0xbf248dbb, v26
	v_fmamk_f32 v5, v29, 0x3f441b7d, v1
	v_fmac_f32_e32 v9, 0x3f7c1c5c, v19
	v_fmac_f32_e32 v8, 0x3eaf1d44, v26
	;; [unrolled: 1-line block ×9, first 2 shown]
	v_add_f32_e32 v3, v8, v3
	v_sub_f32_e32 v4, v4, v11
	v_fmac_f32_e32 v2, -0.5, v25
	v_fmac_f32_e32 v10, 0xbf5db3d7, v21
	v_fmac_f32_e32 v5, -0.5, v12
	v_fmac_f32_e32 v9, 0x3eaf1d44, v27
	v_fma_f32 v7, -2.0, v8, v3
	v_add_f32_e32 v30, v26, v15
	v_fma_f32 v8, 2.0, v11, v4
	v_add_f32_e32 v11, v27, v16
	v_mul_f32_e32 v26, 0x3f7c1c5c, v26
	v_mul_f32_e32 v27, 0x3f7c1c5c, v27
	v_fmac_f32_e32 v2, 0xbf708fb2, v28
	v_fmac_f32_e32 v10, 0x3eaf1d44, v18
	;; [unrolled: 1-line block ×3, first 2 shown]
	v_add_f32_e32 v31, v23, v17
	v_add_f32_e32 v32, v24, v20
	v_fmamk_f32 v23, v23, 0x3f441b7d, v0
	v_fmamk_f32 v24, v24, 0x3f441b7d, v1
	v_sub_f32_e32 v30, v30, v18
	v_sub_f32_e32 v34, v11, v19
	v_fma_f32 v18, 0xbf248dbb, v18, -v26
	v_fma_f32 v19, 0xbf248dbb, v19, -v27
	v_sub_f32_e32 v2, v2, v9
	v_add_f32_e32 v5, v10, v5
	v_fmac_f32_e32 v23, 0x3e31d0d4, v28
	v_fmac_f32_e32 v24, 0x3e31d0d4, v29
	;; [unrolled: 1-line block ×4, first 2 shown]
	v_add_f32_e32 v21, v25, v31
	v_add_f32_e32 v22, v12, v32
	v_fma_f32 v6, 2.0, v9, v2
	v_fma_f32 v9, -2.0, v10, v5
	v_add_f32_e32 v10, v25, v0
	v_add_f32_e32 v33, v28, v31
	v_add_f32_e32 v11, v12, v1
	v_add_f32_e32 v36, v29, v32
	v_fmac_f32_e32 v23, -0.5, v25
	v_fmac_f32_e32 v24, -0.5, v12
	v_add_f32_e32 v12, v37, v21
	v_add_f32_e32 v13, v13, v22
	v_fmac_f32_e32 v10, -0.5, v33
	v_fmac_f32_e32 v11, -0.5, v36
	v_fmac_f32_e32 v18, 0x3eaf1d44, v15
	v_fmac_f32_e32 v19, 0x3eaf1d44, v16
	;; [unrolled: 1-line block ×4, first 2 shown]
	v_add_f32_e32 v16, v38, v12
	v_add_f32_e32 v13, v14, v13
	v_mul_f32_e32 v35, 0x3f5db3d7, v30
	v_mul_f32_e32 v33, 0x3f5db3d7, v34
	v_fmac_f32_e32 v10, 0xbf5db3d7, v34
	v_fmac_f32_e32 v11, 0x3f5db3d7, v30
	v_sub_f32_e32 v14, v23, v19
	v_add_f32_e32 v15, v18, v24
	v_add_f32_e32 v0, v16, v0
	;; [unrolled: 1-line block ×3, first 2 shown]
	v_fma_f32 v12, 2.0, v33, v10
	v_fma_f32 v13, -2.0, v35, v11
	v_fma_f32 v16, 2.0, v19, v14
	v_fma_f32 v17, -2.0, v18, v15
	v_add_nc_u32_e32 v18, 0x400, v82
	ds_write_b64 v82, v[0:1]
	ds_write2_b64 v82, v[2:3], v[4:5] offset0:34 offset1:68
	ds_write2_b64 v82, v[10:11], v[14:15] offset0:102 offset1:136
	;; [unrolled: 1-line block ×4, first 2 shown]
	s_waitcnt lgkmcnt(0)
	s_barrier
	buffer_gl0_inv
	s_and_b32 exec_lo, exec_lo, vcc_lo
	s_cbranch_execz .LBB0_23
; %bb.22:
	global_load_dwordx2 v[0:1], v78, s[12:13]
	ds_read_b64 v[2:3], v82
	s_mov_b32 s0, 0x1ac5701b
	s_mov_b32 s1, 0x3f6ac570
	v_mad_u64_u32 v[6:7], null, s4, v79, 0
	s_mul_i32 s2, s5, 0x90
	s_mul_i32 s3, s4, 0x90
	s_waitcnt vmcnt(0) lgkmcnt(0)
	v_mul_f32_e32 v4, v3, v1
	v_mul_f32_e32 v1, v2, v1
	v_fmac_f32_e32 v4, v2, v0
	v_fma_f32 v2, v0, v3, -v1
	v_cvt_f64_f32_e32 v[0:1], v4
	v_cvt_f64_f32_e32 v[2:3], v2
	v_mad_u64_u32 v[4:5], null, s6, v40, 0
	s_mul_hi_u32 s6, s4, 0x90
	s_add_i32 s2, s6, s2
	v_mad_u64_u32 v[8:9], null, s7, v40, v[5:6]
	v_mad_u64_u32 v[9:10], null, s5, v79, v[7:8]
	v_mov_b32_e32 v5, v8
	v_mul_f64 v[0:1], v[0:1], s[0:1]
	v_mul_f64 v[2:3], v[2:3], s[0:1]
	v_mov_b32_e32 v7, v9
	v_cvt_f32_f64_e32 v0, v[0:1]
	v_cvt_f32_f64_e32 v1, v[2:3]
	v_lshlrev_b64 v[2:3], 3, v[4:5]
	v_lshlrev_b64 v[4:5], 3, v[6:7]
	v_add_co_u32 v8, vcc_lo, s14, v2
	v_add_co_ci_u32_e32 v9, vcc_lo, s15, v3, vcc_lo
	v_add_co_u32 v4, vcc_lo, v8, v4
	v_add_co_ci_u32_e32 v5, vcc_lo, v9, v5, vcc_lo
	global_store_dwordx2 v[4:5], v[0:1], off
	global_load_dwordx2 v[6:7], v78, s[12:13] offset:144
	ds_read2_b64 v[0:3], v82 offset0:18 offset1:36
	v_add_co_u32 v4, vcc_lo, v4, s3
	v_add_co_ci_u32_e32 v5, vcc_lo, s2, v5, vcc_lo
	s_waitcnt vmcnt(0) lgkmcnt(0)
	v_mul_f32_e32 v10, v1, v7
	v_mul_f32_e32 v7, v0, v7
	v_fmac_f32_e32 v10, v0, v6
	v_fma_f32 v6, v6, v1, -v7
	v_cvt_f64_f32_e32 v[0:1], v10
	v_cvt_f64_f32_e32 v[6:7], v6
	v_mul_f64 v[0:1], v[0:1], s[0:1]
	v_mul_f64 v[6:7], v[6:7], s[0:1]
	v_cvt_f32_f64_e32 v0, v[0:1]
	v_cvt_f32_f64_e32 v1, v[6:7]
	global_store_dwordx2 v[4:5], v[0:1], off
	global_load_dwordx2 v[0:1], v78, s[12:13] offset:288
	v_add_co_u32 v4, vcc_lo, v4, s3
	v_add_co_ci_u32_e32 v5, vcc_lo, s2, v5, vcc_lo
	s_waitcnt vmcnt(0)
	v_mul_f32_e32 v6, v3, v1
	v_mul_f32_e32 v1, v2, v1
	v_fmac_f32_e32 v6, v2, v0
	v_fma_f32 v2, v0, v3, -v1
	v_cvt_f64_f32_e32 v[0:1], v6
	v_cvt_f64_f32_e32 v[2:3], v2
	v_mul_f64 v[0:1], v[0:1], s[0:1]
	v_mul_f64 v[2:3], v[2:3], s[0:1]
	v_cvt_f32_f64_e32 v0, v[0:1]
	v_cvt_f32_f64_e32 v1, v[2:3]
	global_store_dwordx2 v[4:5], v[0:1], off
	global_load_dwordx2 v[6:7], v78, s[12:13] offset:432
	ds_read2_b64 v[0:3], v82 offset0:54 offset1:72
	v_add_co_u32 v4, vcc_lo, v4, s3
	v_add_co_ci_u32_e32 v5, vcc_lo, s2, v5, vcc_lo
	s_waitcnt vmcnt(0) lgkmcnt(0)
	v_mul_f32_e32 v10, v1, v7
	v_mul_f32_e32 v7, v0, v7
	v_fmac_f32_e32 v10, v0, v6
	v_fma_f32 v6, v6, v1, -v7
	v_cvt_f64_f32_e32 v[0:1], v10
	v_cvt_f64_f32_e32 v[6:7], v6
	v_mul_f64 v[0:1], v[0:1], s[0:1]
	v_mul_f64 v[6:7], v[6:7], s[0:1]
	v_cvt_f32_f64_e32 v0, v[0:1]
	v_cvt_f32_f64_e32 v1, v[6:7]
	global_store_dwordx2 v[4:5], v[0:1], off
	global_load_dwordx2 v[0:1], v78, s[12:13] offset:576
	v_add_co_u32 v4, vcc_lo, v4, s3
	v_add_co_ci_u32_e32 v5, vcc_lo, s2, v5, vcc_lo
	s_waitcnt vmcnt(0)
	v_mul_f32_e32 v6, v3, v1
	v_mul_f32_e32 v1, v2, v1
	v_fmac_f32_e32 v6, v2, v0
	v_fma_f32 v2, v0, v3, -v1
	v_cvt_f64_f32_e32 v[0:1], v6
	v_cvt_f64_f32_e32 v[2:3], v2
	v_mul_f64 v[0:1], v[0:1], s[0:1]
	v_mul_f64 v[2:3], v[2:3], s[0:1]
	v_cvt_f32_f64_e32 v0, v[0:1]
	v_cvt_f32_f64_e32 v1, v[2:3]
	;; [unrolled: 31-line block ×7, first 2 shown]
	v_add_co_u32 v2, s6, s12, v78
	v_add_co_ci_u32_e64 v3, null, s13, 0, s6
	v_add_co_u32 v2, vcc_lo, 0x800, v2
	v_add_co_ci_u32_e32 v3, vcc_lo, 0, v3, vcc_lo
	global_store_dwordx2 v[4:5], v[0:1], off
	global_load_dwordx2 v[6:7], v[2:3], off offset:112
	v_add_nc_u32_e32 v0, 0x800, v82
	v_add_co_u32 v4, vcc_lo, v4, s3
	v_add_co_ci_u32_e32 v5, vcc_lo, s2, v5, vcc_lo
	ds_read2_b64 v[0:3], v0 offset0:14 offset1:32
	s_waitcnt vmcnt(0) lgkmcnt(0)
	v_mul_f32_e32 v10, v1, v7
	v_mul_f32_e32 v7, v0, v7
	v_fmac_f32_e32 v10, v0, v6
	v_fma_f32 v6, v6, v1, -v7
	v_cvt_f64_f32_e32 v[0:1], v10
	v_cvt_f64_f32_e32 v[6:7], v6
	v_mul_f64 v[0:1], v[0:1], s[0:1]
	v_mul_f64 v[6:7], v[6:7], s[0:1]
	v_cvt_f32_f64_e32 v0, v[0:1]
	v_cvt_f32_f64_e32 v1, v[6:7]
	v_lshlrev_b32_e32 v6, 3, v77
	global_store_dwordx2 v[4:5], v[0:1], off
	global_load_dwordx2 v[0:1], v6, s[12:13]
	s_waitcnt vmcnt(0)
	v_mul_f32_e32 v4, v3, v1
	v_mul_f32_e32 v1, v2, v1
	v_fmac_f32_e32 v4, v2, v0
	v_fma_f32 v2, v0, v3, -v1
	v_cvt_f64_f32_e32 v[0:1], v4
	v_cvt_f64_f32_e32 v[2:3], v2
	v_mad_u64_u32 v[4:5], null, s4, v77, 0
	v_mad_u64_u32 v[5:6], null, s5, v77, v[5:6]
	v_mul_f64 v[0:1], v[0:1], s[0:1]
	v_mul_f64 v[2:3], v[2:3], s[0:1]
	v_cvt_f32_f64_e32 v0, v[0:1]
	v_cvt_f32_f64_e32 v1, v[2:3]
	v_lshlrev_b64 v[2:3], 3, v[4:5]
	v_add_co_u32 v2, vcc_lo, v8, v2
	v_add_co_ci_u32_e32 v3, vcc_lo, v9, v3, vcc_lo
	global_store_dwordx2 v[2:3], v[0:1], off
.LBB0_23:
	s_endpgm
	.section	.rodata,"a",@progbits
	.p2align	6, 0x0
	.amdhsa_kernel bluestein_single_back_len306_dim1_sp_op_CI_CI
		.amdhsa_group_segment_fixed_size 17136
		.amdhsa_private_segment_fixed_size 0
		.amdhsa_kernarg_size 104
		.amdhsa_user_sgpr_count 6
		.amdhsa_user_sgpr_private_segment_buffer 1
		.amdhsa_user_sgpr_dispatch_ptr 0
		.amdhsa_user_sgpr_queue_ptr 0
		.amdhsa_user_sgpr_kernarg_segment_ptr 1
		.amdhsa_user_sgpr_dispatch_id 0
		.amdhsa_user_sgpr_flat_scratch_init 0
		.amdhsa_user_sgpr_private_segment_size 0
		.amdhsa_wavefront_size32 1
		.amdhsa_uses_dynamic_stack 0
		.amdhsa_system_sgpr_private_segment_wavefront_offset 0
		.amdhsa_system_sgpr_workgroup_id_x 1
		.amdhsa_system_sgpr_workgroup_id_y 0
		.amdhsa_system_sgpr_workgroup_id_z 0
		.amdhsa_system_sgpr_workgroup_info 0
		.amdhsa_system_vgpr_workitem_id 0
		.amdhsa_next_free_vgpr 256
		.amdhsa_next_free_sgpr 16
		.amdhsa_reserve_vcc 1
		.amdhsa_reserve_flat_scratch 0
		.amdhsa_float_round_mode_32 0
		.amdhsa_float_round_mode_16_64 0
		.amdhsa_float_denorm_mode_32 3
		.amdhsa_float_denorm_mode_16_64 3
		.amdhsa_dx10_clamp 1
		.amdhsa_ieee_mode 1
		.amdhsa_fp16_overflow 0
		.amdhsa_workgroup_processor_mode 1
		.amdhsa_memory_ordered 1
		.amdhsa_forward_progress 0
		.amdhsa_shared_vgpr_count 0
		.amdhsa_exception_fp_ieee_invalid_op 0
		.amdhsa_exception_fp_denorm_src 0
		.amdhsa_exception_fp_ieee_div_zero 0
		.amdhsa_exception_fp_ieee_overflow 0
		.amdhsa_exception_fp_ieee_underflow 0
		.amdhsa_exception_fp_ieee_inexact 0
		.amdhsa_exception_int_div_zero 0
	.end_amdhsa_kernel
	.text
.Lfunc_end0:
	.size	bluestein_single_back_len306_dim1_sp_op_CI_CI, .Lfunc_end0-bluestein_single_back_len306_dim1_sp_op_CI_CI
                                        ; -- End function
	.section	.AMDGPU.csdata,"",@progbits
; Kernel info:
; codeLenInByte = 17312
; NumSgprs: 18
; NumVgprs: 256
; ScratchSize: 0
; MemoryBound: 0
; FloatMode: 240
; IeeeMode: 1
; LDSByteSize: 17136 bytes/workgroup (compile time only)
; SGPRBlocks: 2
; VGPRBlocks: 31
; NumSGPRsForWavesPerEU: 18
; NumVGPRsForWavesPerEU: 256
; Occupancy: 4
; WaveLimiterHint : 1
; COMPUTE_PGM_RSRC2:SCRATCH_EN: 0
; COMPUTE_PGM_RSRC2:USER_SGPR: 6
; COMPUTE_PGM_RSRC2:TRAP_HANDLER: 0
; COMPUTE_PGM_RSRC2:TGID_X_EN: 1
; COMPUTE_PGM_RSRC2:TGID_Y_EN: 0
; COMPUTE_PGM_RSRC2:TGID_Z_EN: 0
; COMPUTE_PGM_RSRC2:TIDIG_COMP_CNT: 0
	.text
	.p2alignl 6, 3214868480
	.fill 48, 4, 3214868480
	.type	__hip_cuid_e7b4c28d564ba98b,@object ; @__hip_cuid_e7b4c28d564ba98b
	.section	.bss,"aw",@nobits
	.globl	__hip_cuid_e7b4c28d564ba98b
__hip_cuid_e7b4c28d564ba98b:
	.byte	0                               ; 0x0
	.size	__hip_cuid_e7b4c28d564ba98b, 1

	.ident	"AMD clang version 19.0.0git (https://github.com/RadeonOpenCompute/llvm-project roc-6.4.0 25133 c7fe45cf4b819c5991fe208aaa96edf142730f1d)"
	.section	".note.GNU-stack","",@progbits
	.addrsig
	.addrsig_sym __hip_cuid_e7b4c28d564ba98b
	.amdgpu_metadata
---
amdhsa.kernels:
  - .args:
      - .actual_access:  read_only
        .address_space:  global
        .offset:         0
        .size:           8
        .value_kind:     global_buffer
      - .actual_access:  read_only
        .address_space:  global
        .offset:         8
        .size:           8
        .value_kind:     global_buffer
      - .actual_access:  read_only
        .address_space:  global
        .offset:         16
        .size:           8
        .value_kind:     global_buffer
      - .actual_access:  read_only
        .address_space:  global
        .offset:         24
        .size:           8
        .value_kind:     global_buffer
      - .actual_access:  read_only
        .address_space:  global
        .offset:         32
        .size:           8
        .value_kind:     global_buffer
      - .offset:         40
        .size:           8
        .value_kind:     by_value
      - .address_space:  global
        .offset:         48
        .size:           8
        .value_kind:     global_buffer
      - .address_space:  global
        .offset:         56
        .size:           8
        .value_kind:     global_buffer
      - .address_space:  global
        .offset:         64
        .size:           8
        .value_kind:     global_buffer
      - .address_space:  global
        .offset:         72
        .size:           8
        .value_kind:     global_buffer
      - .offset:         80
        .size:           4
        .value_kind:     by_value
      - .address_space:  global
        .offset:         88
        .size:           8
        .value_kind:     global_buffer
      - .address_space:  global
        .offset:         96
        .size:           8
        .value_kind:     global_buffer
    .group_segment_fixed_size: 17136
    .kernarg_segment_align: 8
    .kernarg_segment_size: 104
    .language:       OpenCL C
    .language_version:
      - 2
      - 0
    .max_flat_workgroup_size: 238
    .name:           bluestein_single_back_len306_dim1_sp_op_CI_CI
    .private_segment_fixed_size: 0
    .sgpr_count:     18
    .sgpr_spill_count: 0
    .symbol:         bluestein_single_back_len306_dim1_sp_op_CI_CI.kd
    .uniform_work_group_size: 1
    .uses_dynamic_stack: false
    .vgpr_count:     256
    .vgpr_spill_count: 0
    .wavefront_size: 32
    .workgroup_processor_mode: 1
amdhsa.target:   amdgcn-amd-amdhsa--gfx1030
amdhsa.version:
  - 1
  - 2
...

	.end_amdgpu_metadata
